;; amdgpu-corpus repo=ROCm/rccl kind=compiled arch=gfx1250 opt=O3
	.amdgcn_target "amdgcn-amd-amdhsa--gfx1250"
	.amdhsa_code_object_version 6
	.text
	.p2align	2                               ; -- Begin function __ockl_fprintf_append_string_n
	.type	__ockl_fprintf_append_string_n,@function
__ockl_fprintf_append_string_n:         ; @__ockl_fprintf_append_string_n
; %bb.0:
	s_wait_loadcnt_dscnt 0x0
	s_wait_kmcnt 0x0
	v_or_b32_e32 v2, 2, v0
	v_cmp_eq_u32_e32 vcc_lo, 0, v6
	v_mbcnt_lo_u32_b32 v30, -1, 0
	s_get_pc_i64 s[0:1]
	s_add_nc_u64 s[0:1], s[0:1], .str.3@rel64+4
	s_mov_b32 s6, 0
	s_cmp_lg_u64 s[0:1], 0
	v_cndmask_b32_e32 v3, v2, v0, vcc_lo
	s_cbranch_scc0 .LBB0_113
; %bb.1:
	s_load_b64 s[2:3], s[8:9], 0x50
	s_delay_alu instid0(VALU_DEP_1) | instskip(SKIP_3) | instid1(VALU_DEP_4)
	v_dual_mov_b32 v7, 0 :: v_dual_bitop2_b32 v0, -3, v3 bitop3:0x40
	v_mov_b64_e32 v[8:9], 0x100000002
	v_mov_b64_e32 v[32:33], s[0:1]
	v_and_b32_e32 v2, 2, v3
	v_mov_b64_e32 v[10:11], v[0:1]
	s_mov_b32 s7, 0
	s_branch .LBB0_3
.LBB0_2:                                ;   in Loop: Header=BB0_3 Depth=1
	s_or_b32 exec_lo, exec_lo, s10
	v_sub_nc_u64_e32 v[4:5], v[4:5], v[34:35]
	v_add_nc_u64_e32 v[32:33], v[32:33], v[34:35]
	s_delay_alu instid0(VALU_DEP_2) | instskip(SKIP_1) | instid1(SALU_CYCLE_1)
	v_cmp_eq_u64_e32 vcc_lo, 0, v[4:5]
	s_or_b32 s7, vcc_lo, s7
	s_and_not1_b32 exec_lo, exec_lo, s7
	s_cbranch_execz .LBB0_85
.LBB0_3:                                ; =>This Loop Header: Depth=1
                                        ;     Child Loop BB0_6 Depth 2
                                        ;     Child Loop BB0_14 Depth 2
	;; [unrolled: 1-line block ×11, first 2 shown]
	v_min_u64 v[34:35], v[4:5], 56
	s_delay_alu instid0(VALU_DEP_3)
	v_add_nc_u64_e32 v[16:17], 8, v[32:33]
	s_mov_b32 s0, exec_lo
	v_cmpx_gt_u64_e32 8, v[4:5]
	s_xor_b32 s4, exec_lo, s0
	s_cbranch_execz .LBB0_9
; %bb.4:                                ;   in Loop: Header=BB0_3 Depth=1
	s_wait_loadcnt 0x0
	v_mov_b64_e32 v[12:13], 0
	s_mov_b32 s5, exec_lo
	v_cmpx_ne_u64_e32 0, v[4:5]
	s_cbranch_execz .LBB0_8
; %bb.5:                                ;   in Loop: Header=BB0_3 Depth=1
	v_mov_b64_e32 v[12:13], 0
	v_mov_b64_e32 v[14:15], v[32:33]
	v_lshlrev_b32_e32 v0, 3, v34
	s_mov_b64 s[0:1], 0
	s_mov_b32 s10, 0
.LBB0_6:                                ;   Parent Loop BB0_3 Depth=1
                                        ; =>  This Inner Loop Header: Depth=2
	global_load_u8 v6, v[14:15], off
	v_mov_b32_e32 v17, s6
	s_wait_xcnt 0x0
	v_add_nc_u64_e32 v[14:15], 1, v[14:15]
	s_wait_loadcnt 0x0
	v_and_b32_e32 v16, 0xffff, v6
	s_delay_alu instid0(VALU_DEP_1) | instskip(SKIP_1) | instid1(SALU_CYCLE_1)
	v_lshlrev_b64_e32 v[16:17], s0, v[16:17]
	s_add_nc_u64 s[0:1], s[0:1], 8
	v_cmp_eq_u32_e32 vcc_lo, s0, v0
	s_delay_alu instid0(VALU_DEP_2) | instskip(NEXT) | instid1(VALU_DEP_3)
	v_or_b32_e32 v13, v17, v13
	v_or_b32_e32 v12, v16, v12
	s_or_b32 s10, vcc_lo, s10
	s_delay_alu instid0(SALU_CYCLE_1)
	s_and_not1_b32 exec_lo, exec_lo, s10
	s_cbranch_execnz .LBB0_6
; %bb.7:                                ;   in Loop: Header=BB0_3 Depth=1
	s_or_b32 exec_lo, exec_lo, s10
.LBB0_8:                                ;   in Loop: Header=BB0_3 Depth=1
	s_delay_alu instid0(SALU_CYCLE_1)
	s_or_b32 exec_lo, exec_lo, s5
	v_mov_b64_e32 v[16:17], v[32:33]
.LBB0_9:                                ;   in Loop: Header=BB0_3 Depth=1
	s_or_saveexec_b32 s0, s4
	v_mov_b32_e32 v0, 0
	s_xor_b32 exec_lo, exec_lo, s0
	s_cbranch_execz .LBB0_11
; %bb.10:                               ;   in Loop: Header=BB0_3 Depth=1
	s_wait_loadcnt 0x0
	global_load_b64 v[12:13], v[32:33], off
	v_add_nc_u32_e32 v0, -8, v34
.LBB0_11:                               ;   in Loop: Header=BB0_3 Depth=1
	s_wait_xcnt 0x0
	s_or_b32 exec_lo, exec_lo, s0
	v_add_nc_u64_e32 v[18:19], 8, v[16:17]
                                        ; implicit-def: $vgpr14_vgpr15
	s_mov_b32 s0, exec_lo
	v_cmpx_gt_u32_e32 8, v0
	s_xor_b32 s10, exec_lo, s0
	s_cbranch_execz .LBB0_17
; %bb.12:                               ;   in Loop: Header=BB0_3 Depth=1
	v_mov_b64_e32 v[14:15], 0
	s_mov_b32 s11, exec_lo
	v_cmpx_ne_u32_e32 0, v0
	s_cbranch_execz .LBB0_16
; %bb.13:                               ;   in Loop: Header=BB0_3 Depth=1
	v_mov_b64_e32 v[14:15], 0
	s_mov_b64 s[0:1], 0
	s_mov_b32 s12, 0
	s_mov_b64 s[4:5], 0
.LBB0_14:                               ;   Parent Loop BB0_3 Depth=1
                                        ; =>  This Inner Loop Header: Depth=2
	s_delay_alu instid0(SALU_CYCLE_1) | instskip(SKIP_1) | instid1(SALU_CYCLE_1)
	v_add_nc_u64_e32 v[18:19], s[4:5], v[16:17]
	s_add_nc_u64 s[4:5], s[4:5], 1
	v_cmp_eq_u32_e32 vcc_lo, s4, v0
	global_load_u8 v6, v[18:19], off
	s_wait_xcnt 0x0
	v_mov_b32_e32 v19, s6
	s_or_b32 s12, vcc_lo, s12
	s_wait_loadcnt 0x0
	v_and_b32_e32 v18, 0xffff, v6
	s_delay_alu instid0(VALU_DEP_1) | instskip(SKIP_1) | instid1(VALU_DEP_1)
	v_lshlrev_b64_e32 v[18:19], s0, v[18:19]
	s_add_nc_u64 s[0:1], s[0:1], 8
	v_or_b32_e32 v15, v19, v15
	s_delay_alu instid0(VALU_DEP_2)
	v_or_b32_e32 v14, v18, v14
	s_and_not1_b32 exec_lo, exec_lo, s12
	s_cbranch_execnz .LBB0_14
; %bb.15:                               ;   in Loop: Header=BB0_3 Depth=1
	s_or_b32 exec_lo, exec_lo, s12
.LBB0_16:                               ;   in Loop: Header=BB0_3 Depth=1
	s_delay_alu instid0(SALU_CYCLE_1)
	s_or_b32 exec_lo, exec_lo, s11
	v_mov_b64_e32 v[18:19], v[16:17]
                                        ; implicit-def: $vgpr0
.LBB0_17:                               ;   in Loop: Header=BB0_3 Depth=1
	s_or_saveexec_b32 s0, s10
	v_mov_b32_e32 v6, 0
	s_xor_b32 exec_lo, exec_lo, s0
	s_cbranch_execz .LBB0_19
; %bb.18:                               ;   in Loop: Header=BB0_3 Depth=1
	global_load_b64 v[14:15], v[16:17], off
	v_add_nc_u32_e32 v6, -8, v0
.LBB0_19:                               ;   in Loop: Header=BB0_3 Depth=1
	s_wait_xcnt 0x0
	s_or_b32 exec_lo, exec_lo, s0
	v_add_nc_u64_e32 v[20:21], 8, v[18:19]
	s_mov_b32 s0, exec_lo
	v_cmpx_gt_u32_e32 8, v6
	s_xor_b32 s10, exec_lo, s0
	s_cbranch_execz .LBB0_25
; %bb.20:                               ;   in Loop: Header=BB0_3 Depth=1
	v_mov_b64_e32 v[16:17], 0
	s_mov_b32 s11, exec_lo
	v_cmpx_ne_u32_e32 0, v6
	s_cbranch_execz .LBB0_24
; %bb.21:                               ;   in Loop: Header=BB0_3 Depth=1
	v_mov_b64_e32 v[16:17], 0
	s_mov_b64 s[0:1], 0
	s_mov_b32 s12, 0
	s_mov_b64 s[4:5], 0
.LBB0_22:                               ;   Parent Loop BB0_3 Depth=1
                                        ; =>  This Inner Loop Header: Depth=2
	s_delay_alu instid0(SALU_CYCLE_1) | instskip(SKIP_1) | instid1(SALU_CYCLE_1)
	v_add_nc_u64_e32 v[20:21], s[4:5], v[18:19]
	s_add_nc_u64 s[4:5], s[4:5], 1
	v_cmp_eq_u32_e32 vcc_lo, s4, v6
	global_load_u8 v0, v[20:21], off
	s_wait_xcnt 0x0
	v_mov_b32_e32 v21, s6
	s_or_b32 s12, vcc_lo, s12
	s_wait_loadcnt 0x0
	v_and_b32_e32 v20, 0xffff, v0
	s_delay_alu instid0(VALU_DEP_1) | instskip(SKIP_1) | instid1(VALU_DEP_1)
	v_lshlrev_b64_e32 v[20:21], s0, v[20:21]
	s_add_nc_u64 s[0:1], s[0:1], 8
	v_or_b32_e32 v17, v21, v17
	s_delay_alu instid0(VALU_DEP_2)
	v_or_b32_e32 v16, v20, v16
	s_and_not1_b32 exec_lo, exec_lo, s12
	s_cbranch_execnz .LBB0_22
; %bb.23:                               ;   in Loop: Header=BB0_3 Depth=1
	s_or_b32 exec_lo, exec_lo, s12
.LBB0_24:                               ;   in Loop: Header=BB0_3 Depth=1
	s_delay_alu instid0(SALU_CYCLE_1)
	s_or_b32 exec_lo, exec_lo, s11
	v_mov_b64_e32 v[20:21], v[18:19]
                                        ; implicit-def: $vgpr6
.LBB0_25:                               ;   in Loop: Header=BB0_3 Depth=1
	s_or_saveexec_b32 s0, s10
	v_mov_b32_e32 v0, 0
	s_xor_b32 exec_lo, exec_lo, s0
	s_cbranch_execz .LBB0_27
; %bb.26:                               ;   in Loop: Header=BB0_3 Depth=1
	global_load_b64 v[16:17], v[18:19], off
	v_add_nc_u32_e32 v0, -8, v6
.LBB0_27:                               ;   in Loop: Header=BB0_3 Depth=1
	s_wait_xcnt 0x0
	s_or_b32 exec_lo, exec_lo, s0
	v_add_nc_u64_e32 v[22:23], 8, v[20:21]
                                        ; implicit-def: $vgpr18_vgpr19
	s_mov_b32 s0, exec_lo
	v_cmpx_gt_u32_e32 8, v0
	s_xor_b32 s10, exec_lo, s0
	s_cbranch_execz .LBB0_33
; %bb.28:                               ;   in Loop: Header=BB0_3 Depth=1
	v_mov_b64_e32 v[18:19], 0
	s_mov_b32 s11, exec_lo
	v_cmpx_ne_u32_e32 0, v0
	s_cbranch_execz .LBB0_32
; %bb.29:                               ;   in Loop: Header=BB0_3 Depth=1
	v_mov_b64_e32 v[18:19], 0
	s_mov_b64 s[0:1], 0
	s_mov_b32 s12, 0
	s_mov_b64 s[4:5], 0
.LBB0_30:                               ;   Parent Loop BB0_3 Depth=1
                                        ; =>  This Inner Loop Header: Depth=2
	s_delay_alu instid0(SALU_CYCLE_1) | instskip(SKIP_1) | instid1(SALU_CYCLE_1)
	v_add_nc_u64_e32 v[22:23], s[4:5], v[20:21]
	s_add_nc_u64 s[4:5], s[4:5], 1
	v_cmp_eq_u32_e32 vcc_lo, s4, v0
	global_load_u8 v6, v[22:23], off
	s_wait_xcnt 0x0
	v_mov_b32_e32 v23, s6
	s_or_b32 s12, vcc_lo, s12
	s_wait_loadcnt 0x0
	v_and_b32_e32 v22, 0xffff, v6
	s_delay_alu instid0(VALU_DEP_1) | instskip(SKIP_1) | instid1(VALU_DEP_1)
	v_lshlrev_b64_e32 v[22:23], s0, v[22:23]
	s_add_nc_u64 s[0:1], s[0:1], 8
	v_or_b32_e32 v19, v23, v19
	s_delay_alu instid0(VALU_DEP_2)
	v_or_b32_e32 v18, v22, v18
	s_and_not1_b32 exec_lo, exec_lo, s12
	s_cbranch_execnz .LBB0_30
; %bb.31:                               ;   in Loop: Header=BB0_3 Depth=1
	s_or_b32 exec_lo, exec_lo, s12
.LBB0_32:                               ;   in Loop: Header=BB0_3 Depth=1
	s_delay_alu instid0(SALU_CYCLE_1)
	s_or_b32 exec_lo, exec_lo, s11
	v_mov_b64_e32 v[22:23], v[20:21]
                                        ; implicit-def: $vgpr0
.LBB0_33:                               ;   in Loop: Header=BB0_3 Depth=1
	s_or_saveexec_b32 s0, s10
	v_mov_b32_e32 v6, 0
	s_xor_b32 exec_lo, exec_lo, s0
	s_cbranch_execz .LBB0_35
; %bb.34:                               ;   in Loop: Header=BB0_3 Depth=1
	global_load_b64 v[18:19], v[20:21], off
	v_add_nc_u32_e32 v6, -8, v0
.LBB0_35:                               ;   in Loop: Header=BB0_3 Depth=1
	s_wait_xcnt 0x0
	s_or_b32 exec_lo, exec_lo, s0
	v_add_nc_u64_e32 v[24:25], 8, v[22:23]
	s_mov_b32 s0, exec_lo
	v_cmpx_gt_u32_e32 8, v6
	s_xor_b32 s10, exec_lo, s0
	s_cbranch_execz .LBB0_41
; %bb.36:                               ;   in Loop: Header=BB0_3 Depth=1
	v_mov_b64_e32 v[20:21], 0
	s_mov_b32 s11, exec_lo
	v_cmpx_ne_u32_e32 0, v6
	s_cbranch_execz .LBB0_40
; %bb.37:                               ;   in Loop: Header=BB0_3 Depth=1
	v_mov_b64_e32 v[20:21], 0
	s_mov_b64 s[0:1], 0
	s_mov_b32 s12, 0
	s_mov_b64 s[4:5], 0
.LBB0_38:                               ;   Parent Loop BB0_3 Depth=1
                                        ; =>  This Inner Loop Header: Depth=2
	s_delay_alu instid0(SALU_CYCLE_1) | instskip(SKIP_1) | instid1(SALU_CYCLE_1)
	v_add_nc_u64_e32 v[24:25], s[4:5], v[22:23]
	s_add_nc_u64 s[4:5], s[4:5], 1
	v_cmp_eq_u32_e32 vcc_lo, s4, v6
	global_load_u8 v0, v[24:25], off
	s_wait_xcnt 0x0
	v_mov_b32_e32 v25, s6
	s_or_b32 s12, vcc_lo, s12
	s_wait_loadcnt 0x0
	v_and_b32_e32 v24, 0xffff, v0
	s_delay_alu instid0(VALU_DEP_1) | instskip(SKIP_1) | instid1(VALU_DEP_1)
	v_lshlrev_b64_e32 v[24:25], s0, v[24:25]
	s_add_nc_u64 s[0:1], s[0:1], 8
	v_or_b32_e32 v21, v25, v21
	s_delay_alu instid0(VALU_DEP_2)
	v_or_b32_e32 v20, v24, v20
	s_and_not1_b32 exec_lo, exec_lo, s12
	s_cbranch_execnz .LBB0_38
; %bb.39:                               ;   in Loop: Header=BB0_3 Depth=1
	s_or_b32 exec_lo, exec_lo, s12
.LBB0_40:                               ;   in Loop: Header=BB0_3 Depth=1
	s_delay_alu instid0(SALU_CYCLE_1)
	s_or_b32 exec_lo, exec_lo, s11
	v_mov_b64_e32 v[24:25], v[22:23]
                                        ; implicit-def: $vgpr6
.LBB0_41:                               ;   in Loop: Header=BB0_3 Depth=1
	s_or_saveexec_b32 s0, s10
	v_mov_b32_e32 v0, 0
	s_xor_b32 exec_lo, exec_lo, s0
	s_cbranch_execz .LBB0_43
; %bb.42:                               ;   in Loop: Header=BB0_3 Depth=1
	global_load_b64 v[20:21], v[22:23], off
	v_add_nc_u32_e32 v0, -8, v6
.LBB0_43:                               ;   in Loop: Header=BB0_3 Depth=1
	s_wait_xcnt 0x0
	s_or_b32 exec_lo, exec_lo, s0
	v_add_nc_u64_e32 v[26:27], 8, v[24:25]
                                        ; implicit-def: $vgpr22_vgpr23
	s_mov_b32 s0, exec_lo
	v_cmpx_gt_u32_e32 8, v0
	s_xor_b32 s10, exec_lo, s0
	s_cbranch_execz .LBB0_49
; %bb.44:                               ;   in Loop: Header=BB0_3 Depth=1
	v_mov_b64_e32 v[22:23], 0
	s_mov_b32 s11, exec_lo
	v_cmpx_ne_u32_e32 0, v0
	s_cbranch_execz .LBB0_48
; %bb.45:                               ;   in Loop: Header=BB0_3 Depth=1
	v_mov_b64_e32 v[22:23], 0
	s_mov_b64 s[0:1], 0
	s_mov_b32 s12, 0
	s_mov_b64 s[4:5], 0
.LBB0_46:                               ;   Parent Loop BB0_3 Depth=1
                                        ; =>  This Inner Loop Header: Depth=2
	s_delay_alu instid0(SALU_CYCLE_1) | instskip(SKIP_1) | instid1(SALU_CYCLE_1)
	v_add_nc_u64_e32 v[26:27], s[4:5], v[24:25]
	s_add_nc_u64 s[4:5], s[4:5], 1
	v_cmp_eq_u32_e32 vcc_lo, s4, v0
	global_load_u8 v6, v[26:27], off
	s_wait_xcnt 0x0
	v_mov_b32_e32 v27, s6
	s_or_b32 s12, vcc_lo, s12
	s_wait_loadcnt 0x0
	v_and_b32_e32 v26, 0xffff, v6
	s_delay_alu instid0(VALU_DEP_1) | instskip(SKIP_1) | instid1(VALU_DEP_1)
	v_lshlrev_b64_e32 v[26:27], s0, v[26:27]
	s_add_nc_u64 s[0:1], s[0:1], 8
	v_or_b32_e32 v23, v27, v23
	s_delay_alu instid0(VALU_DEP_2)
	v_or_b32_e32 v22, v26, v22
	s_and_not1_b32 exec_lo, exec_lo, s12
	s_cbranch_execnz .LBB0_46
; %bb.47:                               ;   in Loop: Header=BB0_3 Depth=1
	s_or_b32 exec_lo, exec_lo, s12
.LBB0_48:                               ;   in Loop: Header=BB0_3 Depth=1
	s_delay_alu instid0(SALU_CYCLE_1)
	s_or_b32 exec_lo, exec_lo, s11
	v_mov_b64_e32 v[26:27], v[24:25]
                                        ; implicit-def: $vgpr0
.LBB0_49:                               ;   in Loop: Header=BB0_3 Depth=1
	s_or_saveexec_b32 s0, s10
	v_mov_b32_e32 v6, 0
	s_xor_b32 exec_lo, exec_lo, s0
	s_cbranch_execz .LBB0_51
; %bb.50:                               ;   in Loop: Header=BB0_3 Depth=1
	global_load_b64 v[22:23], v[24:25], off
	v_add_nc_u32_e32 v6, -8, v0
.LBB0_51:                               ;   in Loop: Header=BB0_3 Depth=1
	s_wait_xcnt 0x0
	s_or_b32 exec_lo, exec_lo, s0
	s_delay_alu instid0(SALU_CYCLE_1) | instskip(NEXT) | instid1(VALU_DEP_1)
	s_mov_b32 s0, exec_lo
	v_cmpx_gt_u32_e32 8, v6
	s_xor_b32 s4, exec_lo, s0
	s_cbranch_execz .LBB0_57
; %bb.52:                               ;   in Loop: Header=BB0_3 Depth=1
	v_mov_b64_e32 v[24:25], 0
	s_mov_b32 s5, exec_lo
	v_cmpx_ne_u32_e32 0, v6
	s_cbranch_execz .LBB0_56
; %bb.53:                               ;   in Loop: Header=BB0_3 Depth=1
	v_mov_b64_e32 v[24:25], 0
	s_mov_b64 s[0:1], 0
	s_mov_b32 s10, 0
.LBB0_54:                               ;   Parent Loop BB0_3 Depth=1
                                        ; =>  This Inner Loop Header: Depth=2
	global_load_u8 v0, v[26:27], off
	v_dual_mov_b32 v29, s6 :: v_dual_add_nc_u32 v6, -1, v6
	s_wait_xcnt 0x0
	v_add_nc_u64_e32 v[26:27], 1, v[26:27]
	s_delay_alu instid0(VALU_DEP_2) | instskip(SKIP_3) | instid1(VALU_DEP_1)
	v_cmp_eq_u32_e32 vcc_lo, 0, v6
	s_or_b32 s10, vcc_lo, s10
	s_wait_loadcnt 0x0
	v_and_b32_e32 v28, 0xffff, v0
	v_lshlrev_b64_e32 v[28:29], s0, v[28:29]
	s_add_nc_u64 s[0:1], s[0:1], 8
	s_delay_alu instid0(VALU_DEP_1) | instskip(NEXT) | instid1(VALU_DEP_2)
	v_or_b32_e32 v25, v29, v25
	v_or_b32_e32 v24, v28, v24
	s_and_not1_b32 exec_lo, exec_lo, s10
	s_cbranch_execnz .LBB0_54
; %bb.55:                               ;   in Loop: Header=BB0_3 Depth=1
	s_or_b32 exec_lo, exec_lo, s10
.LBB0_56:                               ;   in Loop: Header=BB0_3 Depth=1
	s_delay_alu instid0(SALU_CYCLE_1)
	s_or_b32 exec_lo, exec_lo, s5
                                        ; implicit-def: $vgpr26_vgpr27
.LBB0_57:                               ;   in Loop: Header=BB0_3 Depth=1
	s_and_not1_saveexec_b32 s0, s4
	s_cbranch_execz .LBB0_59
; %bb.58:                               ;   in Loop: Header=BB0_3 Depth=1
	global_load_b64 v[24:25], v[26:27], off
.LBB0_59:                               ;   in Loop: Header=BB0_3 Depth=1
	s_wait_xcnt 0x0
	s_or_b32 exec_lo, exec_lo, s0
	v_readfirstlane_b32 s0, v30
	v_mov_b64_e32 v[36:37], 0
	s_delay_alu instid0(VALU_DEP_2)
	v_cmp_eq_u32_e64 s0, s0, v30
	s_and_saveexec_b32 s1, s0
	s_cbranch_execz .LBB0_65
; %bb.60:                               ;   in Loop: Header=BB0_3 Depth=1
	s_wait_kmcnt 0x0
	global_load_b64 v[28:29], v7, s[2:3] offset:24 scope:SCOPE_SYS
	s_wait_loadcnt 0x0
	global_inv scope:SCOPE_SYS
	s_clause 0x1
	global_load_b64 v[26:27], v7, s[2:3] offset:40
	global_load_b64 v[36:37], v7, s[2:3]
	s_mov_b32 s4, exec_lo
	s_wait_loadcnt 0x1
	v_and_b32_e32 v26, v26, v28
	v_and_b32_e32 v27, v27, v29
	s_delay_alu instid0(VALU_DEP_1) | instskip(SKIP_1) | instid1(VALU_DEP_1)
	v_mul_u64_e32 v[26:27], 24, v[26:27]
	s_wait_loadcnt 0x0
	v_add_nc_u64_e32 v[26:27], v[36:37], v[26:27]
	global_load_b64 v[26:27], v[26:27], off scope:SCOPE_SYS
	s_wait_xcnt 0x0
	s_wait_loadcnt 0x0
	global_atomic_cmpswap_b64 v[36:37], v7, v[26:29], s[2:3] offset:24 th:TH_ATOMIC_RETURN scope:SCOPE_SYS
	s_wait_loadcnt 0x0
	global_inv scope:SCOPE_SYS
	s_wait_xcnt 0x0
	v_cmpx_ne_u64_e64 v[36:37], v[28:29]
	s_cbranch_execz .LBB0_64
; %bb.61:                               ;   in Loop: Header=BB0_3 Depth=1
	s_mov_b32 s5, 0
.LBB0_62:                               ;   Parent Loop BB0_3 Depth=1
                                        ; =>  This Inner Loop Header: Depth=2
	s_sleep 1
	s_clause 0x1
	global_load_b64 v[26:27], v7, s[2:3] offset:40
	global_load_b64 v[38:39], v7, s[2:3]
	v_mov_b64_e32 v[28:29], v[36:37]
	s_wait_loadcnt 0x1
	s_delay_alu instid0(VALU_DEP_1) | instskip(SKIP_1) | instid1(VALU_DEP_1)
	v_and_b32_e32 v0, v26, v28
	s_wait_loadcnt 0x0
	v_mad_nc_u64_u32 v[36:37], v0, 24, v[38:39]
	s_delay_alu instid0(VALU_DEP_3) | instskip(NEXT) | instid1(VALU_DEP_1)
	v_and_b32_e32 v0, v27, v29
	v_mad_u32 v37, v0, 24, v37
	global_load_b64 v[26:27], v[36:37], off scope:SCOPE_SYS
	s_wait_xcnt 0x0
	s_wait_loadcnt 0x0
	global_atomic_cmpswap_b64 v[36:37], v7, v[26:29], s[2:3] offset:24 th:TH_ATOMIC_RETURN scope:SCOPE_SYS
	s_wait_loadcnt 0x0
	global_inv scope:SCOPE_SYS
	v_cmp_eq_u64_e32 vcc_lo, v[36:37], v[28:29]
	s_or_b32 s5, vcc_lo, s5
	s_wait_xcnt 0x0
	s_and_not1_b32 exec_lo, exec_lo, s5
	s_cbranch_execnz .LBB0_62
; %bb.63:                               ;   in Loop: Header=BB0_3 Depth=1
	s_or_b32 exec_lo, exec_lo, s5
.LBB0_64:                               ;   in Loop: Header=BB0_3 Depth=1
	s_delay_alu instid0(SALU_CYCLE_1)
	s_or_b32 exec_lo, exec_lo, s4
.LBB0_65:                               ;   in Loop: Header=BB0_3 Depth=1
	s_delay_alu instid0(SALU_CYCLE_1)
	s_or_b32 exec_lo, exec_lo, s1
	s_wait_kmcnt 0x0
	s_clause 0x1
	global_load_b64 v[38:39], v7, s[2:3] offset:40
	global_load_b128 v[26:29], v7, s[2:3]
	v_readfirstlane_b32 s4, v36
	v_readfirstlane_b32 s5, v37
	s_mov_b32 s1, exec_lo
	s_wait_loadcnt 0x1
	v_and_b32_e32 v38, s4, v38
	v_and_b32_e32 v39, s5, v39
	s_delay_alu instid0(VALU_DEP_1) | instskip(SKIP_1) | instid1(VALU_DEP_1)
	v_mul_u64_e32 v[36:37], 24, v[38:39]
	s_wait_loadcnt 0x0
	v_add_nc_u64_e32 v[36:37], v[26:27], v[36:37]
	s_wait_xcnt 0x0
	s_and_saveexec_b32 s10, s0
	s_cbranch_execz .LBB0_67
; %bb.66:                               ;   in Loop: Header=BB0_3 Depth=1
	v_mov_b32_e32 v6, s1
	global_store_b128 v[36:37], v[6:9], off offset:8
.LBB0_67:                               ;   in Loop: Header=BB0_3 Depth=1
	s_wait_xcnt 0x0
	s_or_b32 exec_lo, exec_lo, s10
	v_cmp_gt_u64_e32 vcc_lo, 57, v[4:5]
	v_lshlrev_b64_e32 v[38:39], 12, v[38:39]
	v_and_b32_e32 v6, 0xffffff1f, v10
	v_lshl_add_u32 v10, v34, 2, 28
	v_cndmask_b32_e32 v0, 0, v2, vcc_lo
	s_delay_alu instid0(VALU_DEP_4) | instskip(NEXT) | instid1(VALU_DEP_2)
	v_add_nc_u64_e32 v[28:29], v[28:29], v[38:39]
	v_dual_lshlrev_b32 v6, 6, v30 :: v_dual_bitop2_b32 v0, v6, v0 bitop3:0x54
	s_delay_alu instid0(VALU_DEP_2) | instskip(NEXT) | instid1(VALU_DEP_3)
	v_readfirstlane_b32 s10, v28
	v_readfirstlane_b32 s11, v29
	s_delay_alu instid0(VALU_DEP_3)
	v_and_or_b32 v10, 0x1e0, v10, v0
	s_clause 0x3
	global_store_b128 v6, v[10:13], s[10:11]
	global_store_b128 v6, v[14:17], s[10:11] offset:16
	global_store_b128 v6, v[18:21], s[10:11] offset:32
	;; [unrolled: 1-line block ×3, first 2 shown]
	s_wait_xcnt 0x0
	s_and_saveexec_b32 s1, s0
	s_cbranch_execz .LBB0_75
; %bb.68:                               ;   in Loop: Header=BB0_3 Depth=1
	s_clause 0x1
	global_load_b64 v[18:19], v7, s[2:3] offset:32 scope:SCOPE_SYS
	global_load_b64 v[10:11], v7, s[2:3] offset:40
	s_mov_b32 s10, exec_lo
	v_dual_mov_b32 v16, s4 :: v_dual_mov_b32 v17, s5
	s_wait_loadcnt 0x0
	v_and_b32_e32 v11, s5, v11
	v_and_b32_e32 v10, s4, v10
	s_delay_alu instid0(VALU_DEP_1) | instskip(NEXT) | instid1(VALU_DEP_1)
	v_mul_u64_e32 v[10:11], 24, v[10:11]
	v_add_nc_u64_e32 v[14:15], v[26:27], v[10:11]
	global_store_b64 v[14:15], v[18:19], off
	global_wb scope:SCOPE_SYS
	s_wait_storecnt 0x0
	s_wait_xcnt 0x0
	global_atomic_cmpswap_b64 v[12:13], v7, v[16:19], s[2:3] offset:32 th:TH_ATOMIC_RETURN scope:SCOPE_SYS
	s_wait_loadcnt 0x0
	v_cmpx_ne_u64_e64 v[12:13], v[18:19]
	s_cbranch_execz .LBB0_71
; %bb.69:                               ;   in Loop: Header=BB0_3 Depth=1
	s_mov_b32 s11, 0
.LBB0_70:                               ;   Parent Loop BB0_3 Depth=1
                                        ; =>  This Inner Loop Header: Depth=2
	v_dual_mov_b32 v10, s4 :: v_dual_mov_b32 v11, s5
	s_sleep 1
	global_store_b64 v[14:15], v[12:13], off
	global_wb scope:SCOPE_SYS
	s_wait_storecnt 0x0
	s_wait_xcnt 0x0
	global_atomic_cmpswap_b64 v[10:11], v7, v[10:13], s[2:3] offset:32 th:TH_ATOMIC_RETURN scope:SCOPE_SYS
	s_wait_loadcnt 0x0
	v_cmp_eq_u64_e32 vcc_lo, v[10:11], v[12:13]
	v_mov_b64_e32 v[12:13], v[10:11]
	s_or_b32 s11, vcc_lo, s11
	s_delay_alu instid0(SALU_CYCLE_1)
	s_and_not1_b32 exec_lo, exec_lo, s11
	s_cbranch_execnz .LBB0_70
.LBB0_71:                               ;   in Loop: Header=BB0_3 Depth=1
	s_or_b32 exec_lo, exec_lo, s10
	global_load_b64 v[10:11], v7, s[2:3] offset:16
	s_mov_b32 s11, exec_lo
	s_mov_b32 s10, exec_lo
	v_mbcnt_lo_u32_b32 v0, s11, 0
	s_wait_xcnt 0x0
	s_delay_alu instid0(VALU_DEP_1)
	v_cmpx_eq_u32_e32 0, v0
	s_cbranch_execz .LBB0_73
; %bb.72:                               ;   in Loop: Header=BB0_3 Depth=1
	s_bcnt1_i32_b32 s11, s11
	s_delay_alu instid0(SALU_CYCLE_1)
	v_dual_mov_b32 v13, v7 :: v_dual_mov_b32 v12, s11
	global_wb scope:SCOPE_SYS
	s_wait_loadcnt 0x0
	s_wait_storecnt 0x0
	global_atomic_add_u64 v[10:11], v[12:13], off offset:8 scope:SCOPE_SYS
.LBB0_73:                               ;   in Loop: Header=BB0_3 Depth=1
	s_wait_xcnt 0x0
	s_or_b32 exec_lo, exec_lo, s10
	s_wait_loadcnt 0x0
	global_load_b64 v[12:13], v[10:11], off offset:16
	s_wait_loadcnt 0x0
	v_cmp_eq_u64_e32 vcc_lo, 0, v[12:13]
	s_cbranch_vccnz .LBB0_75
; %bb.74:                               ;   in Loop: Header=BB0_3 Depth=1
	global_load_b32 v10, v[10:11], off offset:24
	s_wait_xcnt 0x0
	v_mov_b32_e32 v11, v7
	s_wait_loadcnt 0x0
	v_readfirstlane_b32 s10, v10
	global_wb scope:SCOPE_SYS
	s_wait_storecnt 0x0
	global_store_b64 v[12:13], v[10:11], off scope:SCOPE_SYS
	s_and_b32 m0, s10, 0xffffff
	s_sendmsg sendmsg(MSG_INTERRUPT)
.LBB0_75:                               ;   in Loop: Header=BB0_3 Depth=1
	s_wait_xcnt 0x0
	s_or_b32 exec_lo, exec_lo, s1
	v_add_nc_u64_e32 v[10:11], v[28:29], v[6:7]
	s_branch .LBB0_79
.LBB0_76:                               ;   in Loop: Header=BB0_79 Depth=2
	s_wait_xcnt 0x0
	s_or_b32 exec_lo, exec_lo, s1
	s_delay_alu instid0(VALU_DEP_1)
	v_readfirstlane_b32 s1, v0
	s_cmp_eq_u32 s1, 0
	s_cbranch_scc1 .LBB0_78
; %bb.77:                               ;   in Loop: Header=BB0_79 Depth=2
	s_sleep 1
	s_cbranch_execnz .LBB0_79
	s_branch .LBB0_81
.LBB0_78:                               ;   in Loop: Header=BB0_3 Depth=1
	s_branch .LBB0_81
.LBB0_79:                               ;   Parent Loop BB0_3 Depth=1
                                        ; =>  This Inner Loop Header: Depth=2
	v_mov_b32_e32 v0, 1
	s_and_saveexec_b32 s1, s0
	s_cbranch_execz .LBB0_76
; %bb.80:                               ;   in Loop: Header=BB0_79 Depth=2
	global_load_b32 v0, v[36:37], off offset:20 scope:SCOPE_SYS
	s_wait_loadcnt 0x0
	global_inv scope:SCOPE_SYS
	v_and_b32_e32 v0, 1, v0
	s_branch .LBB0_76
.LBB0_81:                               ;   in Loop: Header=BB0_3 Depth=1
	global_load_b128 v[10:13], v[10:11], off
	s_wait_xcnt 0x0
	s_and_saveexec_b32 s10, s0
	s_cbranch_execz .LBB0_2
; %bb.82:                               ;   in Loop: Header=BB0_3 Depth=1
	s_wait_loadcnt 0x0
	s_clause 0x2
	global_load_b64 v[12:13], v7, s[2:3] offset:40
	global_load_b64 v[20:21], v7, s[2:3] offset:24 scope:SCOPE_SYS
	global_load_b64 v[14:15], v7, s[2:3]
	s_wait_loadcnt 0x2
	v_readfirstlane_b32 s12, v12
	v_readfirstlane_b32 s13, v13
	s_add_nc_u64 s[0:1], s[12:13], 1
	s_delay_alu instid0(SALU_CYCLE_1) | instskip(NEXT) | instid1(SALU_CYCLE_1)
	s_add_nc_u64 s[4:5], s[0:1], s[4:5]
	s_cmp_eq_u64 s[4:5], 0
	s_cselect_b32 s1, s1, s5
	s_cselect_b32 s0, s0, s4
	s_delay_alu instid0(SALU_CYCLE_1) | instskip(SKIP_1) | instid1(SALU_CYCLE_1)
	v_dual_mov_b32 v19, s1 :: v_dual_mov_b32 v18, s0
	s_and_b64 s[4:5], s[0:1], s[12:13]
	s_mul_u64 s[4:5], s[4:5], 24
	s_wait_loadcnt 0x0
	v_add_nc_u64_e32 v[16:17], s[4:5], v[14:15]
	global_store_b64 v[16:17], v[20:21], off
	global_wb scope:SCOPE_SYS
	s_wait_storecnt 0x0
	s_wait_xcnt 0x0
	global_atomic_cmpswap_b64 v[14:15], v7, v[18:21], s[2:3] offset:24 th:TH_ATOMIC_RETURN scope:SCOPE_SYS
	s_wait_loadcnt 0x0
	v_cmp_ne_u64_e32 vcc_lo, v[14:15], v[20:21]
	s_and_b32 exec_lo, exec_lo, vcc_lo
	s_cbranch_execz .LBB0_2
; %bb.83:                               ;   in Loop: Header=BB0_3 Depth=1
	s_mov_b32 s4, 0
.LBB0_84:                               ;   Parent Loop BB0_3 Depth=1
                                        ; =>  This Inner Loop Header: Depth=2
	v_dual_mov_b32 v12, s0 :: v_dual_mov_b32 v13, s1
	s_sleep 1
	global_store_b64 v[16:17], v[14:15], off
	global_wb scope:SCOPE_SYS
	s_wait_storecnt 0x0
	s_wait_xcnt 0x0
	global_atomic_cmpswap_b64 v[12:13], v7, v[12:15], s[2:3] offset:24 th:TH_ATOMIC_RETURN scope:SCOPE_SYS
	s_wait_loadcnt 0x0
	v_cmp_eq_u64_e32 vcc_lo, v[12:13], v[14:15]
	v_mov_b64_e32 v[14:15], v[12:13]
	s_or_b32 s4, vcc_lo, s4
	s_delay_alu instid0(SALU_CYCLE_1)
	s_and_not1_b32 exec_lo, exec_lo, s4
	s_cbranch_execnz .LBB0_84
	s_branch .LBB0_2
.LBB0_85:
	s_or_b32 exec_lo, exec_lo, s7
	s_branch .LBB0_114
.LBB0_86:
	s_load_b64 s[2:3], s[8:9], 0x50
	v_readfirstlane_b32 s0, v30
	v_mov_b64_e32 v[8:9], 0
	s_delay_alu instid0(VALU_DEP_2)
	v_cmp_eq_u32_e64 s0, s0, v30
	s_and_saveexec_b32 s1, s0
	s_cbranch_execz .LBB0_92
; %bb.87:
	v_mov_b32_e32 v0, 0
	s_mov_b32 s4, exec_lo
	s_wait_kmcnt 0x0
	global_load_b64 v[6:7], v0, s[2:3] offset:24 scope:SCOPE_SYS
	s_wait_loadcnt 0x0
	global_inv scope:SCOPE_SYS
	s_clause 0x1
	global_load_b64 v[4:5], v0, s[2:3] offset:40
	global_load_b64 v[8:9], v0, s[2:3]
	s_wait_loadcnt 0x1
	v_and_b32_e32 v4, v4, v6
	v_and_b32_e32 v5, v5, v7
	s_delay_alu instid0(VALU_DEP_1) | instskip(SKIP_1) | instid1(VALU_DEP_1)
	v_mul_u64_e32 v[4:5], 24, v[4:5]
	s_wait_loadcnt 0x0
	v_add_nc_u64_e32 v[4:5], v[8:9], v[4:5]
	global_load_b64 v[4:5], v[4:5], off scope:SCOPE_SYS
	s_wait_xcnt 0x0
	s_wait_loadcnt 0x0
	global_atomic_cmpswap_b64 v[8:9], v0, v[4:7], s[2:3] offset:24 th:TH_ATOMIC_RETURN scope:SCOPE_SYS
	s_wait_loadcnt 0x0
	global_inv scope:SCOPE_SYS
	s_wait_xcnt 0x0
	v_cmpx_ne_u64_e64 v[8:9], v[6:7]
	s_cbranch_execz .LBB0_91
; %bb.88:
	s_mov_b32 s5, 0
.LBB0_89:                               ; =>This Inner Loop Header: Depth=1
	s_sleep 1
	s_clause 0x1
	global_load_b64 v[4:5], v0, s[2:3] offset:40
	global_load_b64 v[10:11], v0, s[2:3]
	v_mov_b64_e32 v[6:7], v[8:9]
	s_wait_loadcnt 0x1
	s_delay_alu instid0(VALU_DEP_1) | instskip(SKIP_1) | instid1(VALU_DEP_1)
	v_and_b32_e32 v2, v4, v6
	s_wait_loadcnt 0x0
	v_mad_nc_u64_u32 v[8:9], v2, 24, v[10:11]
	s_delay_alu instid0(VALU_DEP_3) | instskip(NEXT) | instid1(VALU_DEP_1)
	v_and_b32_e32 v2, v5, v7
	v_mad_u32 v9, v2, 24, v9
	global_load_b64 v[4:5], v[8:9], off scope:SCOPE_SYS
	s_wait_xcnt 0x0
	s_wait_loadcnt 0x0
	global_atomic_cmpswap_b64 v[8:9], v0, v[4:7], s[2:3] offset:24 th:TH_ATOMIC_RETURN scope:SCOPE_SYS
	s_wait_loadcnt 0x0
	global_inv scope:SCOPE_SYS
	v_cmp_eq_u64_e32 vcc_lo, v[8:9], v[6:7]
	s_or_b32 s5, vcc_lo, s5
	s_wait_xcnt 0x0
	s_and_not1_b32 exec_lo, exec_lo, s5
	s_cbranch_execnz .LBB0_89
; %bb.90:
	s_or_b32 exec_lo, exec_lo, s5
.LBB0_91:
	s_delay_alu instid0(SALU_CYCLE_1)
	s_or_b32 exec_lo, exec_lo, s4
.LBB0_92:
	s_delay_alu instid0(SALU_CYCLE_1)
	s_or_b32 exec_lo, exec_lo, s1
	v_readfirstlane_b32 s4, v8
	v_mov_b32_e32 v2, 0
	v_readfirstlane_b32 s5, v9
	s_mov_b32 s1, exec_lo
	s_wait_loadcnt 0x0
	s_wait_kmcnt 0x0
	s_clause 0x1
	global_load_b64 v[10:11], v2, s[2:3] offset:40
	global_load_b128 v[4:7], v2, s[2:3]
	s_wait_loadcnt 0x1
	v_and_b32_e32 v10, s4, v10
	v_and_b32_e32 v11, s5, v11
	s_delay_alu instid0(VALU_DEP_1) | instskip(SKIP_1) | instid1(VALU_DEP_1)
	v_mul_u64_e32 v[8:9], 24, v[10:11]
	s_wait_loadcnt 0x0
	v_add_nc_u64_e32 v[8:9], v[4:5], v[8:9]
	s_wait_xcnt 0x0
	s_and_saveexec_b32 s6, s0
	s_cbranch_execz .LBB0_94
; %bb.93:
	v_mov_b64_e32 v[14:15], 0x100000002
	v_dual_mov_b32 v12, s1 :: v_dual_mov_b32 v13, v2
	global_store_b128 v[8:9], v[12:15], off offset:8
.LBB0_94:
	s_wait_xcnt 0x0
	s_or_b32 exec_lo, exec_lo, s6
	v_lshlrev_b64_e32 v[10:11], 12, v[10:11]
	s_mov_b32 s8, 0
	v_and_or_b32 v0, 0xffffff1f, v3, 32
	s_mov_b32 s10, s8
	s_mov_b32 s11, s8
	;; [unrolled: 1-line block ×3, first 2 shown]
	v_dual_mov_b32 v3, v2 :: v_dual_lshlrev_b32 v14, 6, v30
	v_add_nc_u64_e32 v[6:7], v[6:7], v[10:11]
	v_mov_b64_e32 v[12:13], s[10:11]
	v_mov_b64_e32 v[10:11], s[8:9]
	s_delay_alu instid0(VALU_DEP_3) | instskip(NEXT) | instid1(VALU_DEP_4)
	v_readfirstlane_b32 s6, v6
	v_readfirstlane_b32 s7, v7
	s_clause 0x3
	global_store_b128 v14, v[0:3], s[6:7]
	global_store_b128 v14, v[10:13], s[6:7] offset:16
	global_store_b128 v14, v[10:13], s[6:7] offset:32
	;; [unrolled: 1-line block ×3, first 2 shown]
	s_wait_xcnt 0x0
	s_and_saveexec_b32 s1, s0
	s_cbranch_execz .LBB0_102
; %bb.95:
	v_dual_mov_b32 v6, 0 :: v_dual_mov_b32 v11, s5
	s_mov_b32 s6, exec_lo
	s_clause 0x1
	global_load_b64 v[12:13], v6, s[2:3] offset:32 scope:SCOPE_SYS
	global_load_b64 v[0:1], v6, s[2:3] offset:40
	s_wait_loadcnt 0x0
	v_dual_mov_b32 v10, s4 :: v_dual_bitop2_b32 v1, s5, v1 bitop3:0x40
	v_and_b32_e32 v0, s4, v0
	s_delay_alu instid0(VALU_DEP_1) | instskip(NEXT) | instid1(VALU_DEP_1)
	v_mul_u64_e32 v[0:1], 24, v[0:1]
	v_add_nc_u64_e32 v[4:5], v[4:5], v[0:1]
	global_store_b64 v[4:5], v[12:13], off
	global_wb scope:SCOPE_SYS
	s_wait_storecnt 0x0
	s_wait_xcnt 0x0
	global_atomic_cmpswap_b64 v[2:3], v6, v[10:13], s[2:3] offset:32 th:TH_ATOMIC_RETURN scope:SCOPE_SYS
	s_wait_loadcnt 0x0
	v_cmpx_ne_u64_e64 v[2:3], v[12:13]
	s_cbranch_execz .LBB0_98
; %bb.96:
	s_mov_b32 s7, 0
.LBB0_97:                               ; =>This Inner Loop Header: Depth=1
	v_dual_mov_b32 v0, s4 :: v_dual_mov_b32 v1, s5
	s_sleep 1
	global_store_b64 v[4:5], v[2:3], off
	global_wb scope:SCOPE_SYS
	s_wait_storecnt 0x0
	s_wait_xcnt 0x0
	global_atomic_cmpswap_b64 v[0:1], v6, v[0:3], s[2:3] offset:32 th:TH_ATOMIC_RETURN scope:SCOPE_SYS
	s_wait_loadcnt 0x0
	v_cmp_eq_u64_e32 vcc_lo, v[0:1], v[2:3]
	v_mov_b64_e32 v[2:3], v[0:1]
	s_or_b32 s7, vcc_lo, s7
	s_delay_alu instid0(SALU_CYCLE_1)
	s_and_not1_b32 exec_lo, exec_lo, s7
	s_cbranch_execnz .LBB0_97
.LBB0_98:
	s_or_b32 exec_lo, exec_lo, s6
	v_mov_b32_e32 v3, 0
	s_mov_b32 s7, exec_lo
	s_mov_b32 s6, exec_lo
	v_mbcnt_lo_u32_b32 v2, s7, 0
	global_load_b64 v[0:1], v3, s[2:3] offset:16
	s_wait_xcnt 0x0
	v_cmpx_eq_u32_e32 0, v2
	s_cbranch_execz .LBB0_100
; %bb.99:
	s_bcnt1_i32_b32 s7, s7
	s_delay_alu instid0(SALU_CYCLE_1)
	v_mov_b32_e32 v2, s7
	global_wb scope:SCOPE_SYS
	s_wait_loadcnt 0x0
	s_wait_storecnt 0x0
	global_atomic_add_u64 v[0:1], v[2:3], off offset:8 scope:SCOPE_SYS
.LBB0_100:
	s_wait_xcnt 0x0
	s_or_b32 exec_lo, exec_lo, s6
	s_wait_loadcnt 0x0
	global_load_b64 v[2:3], v[0:1], off offset:16
	s_wait_loadcnt 0x0
	v_cmp_eq_u64_e32 vcc_lo, 0, v[2:3]
	s_cbranch_vccnz .LBB0_102
; %bb.101:
	global_load_b32 v0, v[0:1], off offset:24
	s_wait_xcnt 0x0
	v_mov_b32_e32 v1, 0
	s_wait_loadcnt 0x0
	v_readfirstlane_b32 s6, v0
	global_wb scope:SCOPE_SYS
	s_wait_storecnt 0x0
	global_store_b64 v[2:3], v[0:1], off scope:SCOPE_SYS
	s_and_b32 m0, s6, 0xffffff
	s_sendmsg sendmsg(MSG_INTERRUPT)
.LBB0_102:
	s_wait_xcnt 0x0
	s_or_b32 exec_lo, exec_lo, s1
	s_branch .LBB0_106
.LBB0_103:                              ;   in Loop: Header=BB0_106 Depth=1
	s_wait_xcnt 0x0
	s_or_b32 exec_lo, exec_lo, s1
	s_delay_alu instid0(VALU_DEP_1)
	v_readfirstlane_b32 s1, v0
	s_cmp_eq_u32 s1, 0
	s_cbranch_scc1 .LBB0_105
; %bb.104:                              ;   in Loop: Header=BB0_106 Depth=1
	s_sleep 1
	s_cbranch_execnz .LBB0_106
	s_branch .LBB0_108
.LBB0_105:
	s_branch .LBB0_108
.LBB0_106:                              ; =>This Inner Loop Header: Depth=1
	v_mov_b32_e32 v0, 1
	s_and_saveexec_b32 s1, s0
	s_cbranch_execz .LBB0_103
; %bb.107:                              ;   in Loop: Header=BB0_106 Depth=1
	global_load_b32 v0, v[8:9], off offset:20 scope:SCOPE_SYS
	s_wait_loadcnt 0x0
	global_inv scope:SCOPE_SYS
	v_and_b32_e32 v0, 1, v0
	s_branch .LBB0_103
.LBB0_108:
	s_and_saveexec_b32 s6, s0
	s_cbranch_execz .LBB0_112
; %bb.109:
	v_mov_b32_e32 v6, 0
	s_clause 0x2
	global_load_b64 v[0:1], v6, s[2:3] offset:40
	global_load_b64 v[10:11], v6, s[2:3] offset:24 scope:SCOPE_SYS
	global_load_b64 v[2:3], v6, s[2:3]
	s_wait_loadcnt 0x2
	v_readfirstlane_b32 s8, v0
	v_readfirstlane_b32 s9, v1
	s_add_nc_u64 s[0:1], s[8:9], 1
	s_delay_alu instid0(SALU_CYCLE_1) | instskip(NEXT) | instid1(SALU_CYCLE_1)
	s_add_nc_u64 s[4:5], s[0:1], s[4:5]
	s_cmp_eq_u64 s[4:5], 0
	s_cselect_b32 s1, s1, s5
	s_cselect_b32 s0, s0, s4
	v_mov_b32_e32 v9, s1
	s_and_b64 s[4:5], s[0:1], s[8:9]
	v_mov_b32_e32 v8, s0
	s_mul_u64 s[4:5], s[4:5], 24
	s_wait_loadcnt 0x0
	v_add_nc_u64_e32 v[4:5], s[4:5], v[2:3]
	global_store_b64 v[4:5], v[10:11], off
	global_wb scope:SCOPE_SYS
	s_wait_storecnt 0x0
	s_wait_xcnt 0x0
	global_atomic_cmpswap_b64 v[2:3], v6, v[8:11], s[2:3] offset:24 th:TH_ATOMIC_RETURN scope:SCOPE_SYS
	s_wait_loadcnt 0x0
	v_cmp_ne_u64_e32 vcc_lo, v[2:3], v[10:11]
	s_and_b32 exec_lo, exec_lo, vcc_lo
	s_cbranch_execz .LBB0_112
; %bb.110:
	s_mov_b32 s4, 0
.LBB0_111:                              ; =>This Inner Loop Header: Depth=1
	v_dual_mov_b32 v0, s0 :: v_dual_mov_b32 v1, s1
	s_sleep 1
	global_store_b64 v[4:5], v[2:3], off
	global_wb scope:SCOPE_SYS
	s_wait_storecnt 0x0
	s_wait_xcnt 0x0
	global_atomic_cmpswap_b64 v[0:1], v6, v[0:3], s[2:3] offset:24 th:TH_ATOMIC_RETURN scope:SCOPE_SYS
	s_wait_loadcnt 0x0
	v_cmp_eq_u64_e32 vcc_lo, v[0:1], v[2:3]
	v_mov_b64_e32 v[2:3], v[0:1]
	s_or_b32 s4, vcc_lo, s4
	s_delay_alu instid0(SALU_CYCLE_1)
	s_and_not1_b32 exec_lo, exec_lo, s4
	s_cbranch_execnz .LBB0_111
.LBB0_112:
	s_or_b32 exec_lo, exec_lo, s6
	s_wait_loadcnt 0x0
	s_wait_kmcnt 0x0
	s_set_pc_i64 s[30:31]
.LBB0_113:
	s_cbranch_execnz .LBB0_86
.LBB0_114:
	s_wait_loadcnt 0x0
	s_wait_kmcnt 0x0
	s_set_pc_i64 s[30:31]
.Lfunc_end0:
	.size	__ockl_fprintf_append_string_n, .Lfunc_end0-__ockl_fprintf_append_string_n
                                        ; -- End function
	.set .L__ockl_fprintf_append_string_n.num_vgpr, 40
	.set .L__ockl_fprintf_append_string_n.num_agpr, 0
	.set .L__ockl_fprintf_append_string_n.numbered_sgpr, 32
	.set .L__ockl_fprintf_append_string_n.num_named_barrier, 0
	.set .L__ockl_fprintf_append_string_n.private_seg_size, 0
	.set .L__ockl_fprintf_append_string_n.uses_vcc, 1
	.set .L__ockl_fprintf_append_string_n.uses_flat_scratch, 0
	.set .L__ockl_fprintf_append_string_n.has_dyn_sized_stack, 0
	.set .L__ockl_fprintf_append_string_n.has_recursion, 0
	.set .L__ockl_fprintf_append_string_n.has_indirect_call, 0
	.section	.AMDGPU.csdata,"",@progbits
; Function info:
; codeLenInByte = 4324
; TotalNumSgprs: 34
; NumVgprs: 40
; ScratchSize: 0
; MemoryBound: 0
	.text
	.p2align	2                               ; -- Begin function __assert_fail
	.type	__assert_fail,@function
__assert_fail:                          ; @__assert_fail
; %bb.0:
	s_wait_loadcnt_dscnt 0x0
	s_wait_kmcnt 0x0
	s_mov_b32 s20, s33
	s_mov_b32 s33, s32
	s_or_saveexec_b32 s0, -1
	scratch_store_b32 off, v40, s33 offset:48 ; 4-byte Folded Spill
	s_wait_xcnt 0x0
	s_mov_b32 exec_lo, s0
	v_writelane_b32 v40, s30, 0
	s_add_co_i32 s32, s32, 64
	v_writelane_b32 v40, s31, 1
	v_mov_b32_e32 v8, 0
	s_get_pc_i64 s[0:1]
	s_add_nc_u64 s[0:1], s[0:1], __const.__assert_fail.fmt@rel64+35
	v_dual_mov_b32 v5, v1 :: v_dual_mov_b32 v4, v0
	s_get_pc_i64 s[10:11]
	s_add_nc_u64 s[10:11], s[10:11], __const.__assert_fail.fmt@rel64+20
	global_load_b128 v[0:3], v8, s[0:1]
	s_wait_xcnt 0x0
	s_get_pc_i64 s[0:1]
	s_add_nc_u64 s[0:1], s[0:1], __const.__assert_fail.fmt@rel64+4
	s_clause 0x1
	s_load_b128 s[4:7], s[0:1], 0x0
	s_load_b128 s[12:15], s[10:11], 0x0
	s_load_b64 s[2:3], s[8:9], 0x50
	v_mbcnt_lo_u32_b32 v48, -1, 0
	v_mov_b64_e32 v[6:7], 0
	s_wait_xcnt 0x0
	s_delay_alu instid0(VALU_DEP_2) | instskip(NEXT) | instid1(VALU_DEP_1)
	v_readfirstlane_b32 s0, v48
	v_cmp_eq_u32_e64 s0, s0, v48
	s_wait_kmcnt 0x0
	v_mov_b64_e32 v[12:13], s[6:7]
	v_mov_b64_e32 v[10:11], s[4:5]
	;; [unrolled: 1-line block ×4, first 2 shown]
	s_clause 0x1
	scratch_store_b128 off, v[10:13], s33
	scratch_store_b128 off, v[14:17], s33 offset:16
	s_wait_loadcnt 0x0
	scratch_store_b128 off, v[0:3], s33 offset:31
	s_wait_xcnt 0x0
	s_and_saveexec_b32 s1, s0
	s_cbranch_execz .LBB1_6
; %bb.1:
	global_load_b64 v[2:3], v8, s[2:3] offset:24 scope:SCOPE_SYS
	s_wait_loadcnt 0x0
	global_inv scope:SCOPE_SYS
	s_clause 0x1
	global_load_b64 v[0:1], v8, s[2:3] offset:40
	global_load_b64 v[6:7], v8, s[2:3]
	s_mov_b32 s4, exec_lo
	s_wait_loadcnt 0x1
	v_and_b32_e32 v0, v0, v2
	v_and_b32_e32 v1, v1, v3
	s_delay_alu instid0(VALU_DEP_1) | instskip(SKIP_1) | instid1(VALU_DEP_1)
	v_mul_u64_e32 v[0:1], 24, v[0:1]
	s_wait_loadcnt 0x0
	v_add_nc_u64_e32 v[0:1], v[6:7], v[0:1]
	global_load_b64 v[0:1], v[0:1], off scope:SCOPE_SYS
	s_wait_xcnt 0x0
	s_wait_loadcnt 0x0
	global_atomic_cmpswap_b64 v[6:7], v8, v[0:3], s[2:3] offset:24 th:TH_ATOMIC_RETURN scope:SCOPE_SYS
	s_wait_loadcnt 0x0
	global_inv scope:SCOPE_SYS
	s_wait_xcnt 0x0
	v_cmpx_ne_u64_e64 v[6:7], v[2:3]
	s_cbranch_execz .LBB1_5
; %bb.2:
	v_mov_b32_e32 v0, 0
	s_mov_b32 s5, 0
.LBB1_3:                                ; =>This Inner Loop Header: Depth=1
	s_sleep 1
	s_clause 0x1
	global_load_b64 v[2:3], v0, s[2:3] offset:40
	global_load_b64 v[10:11], v0, s[2:3]
	v_mov_b64_e32 v[12:13], v[6:7]
	s_wait_loadcnt 0x1
	s_delay_alu instid0(VALU_DEP_1) | instskip(SKIP_1) | instid1(VALU_DEP_1)
	v_and_b32_e32 v1, v2, v12
	s_wait_loadcnt 0x0
	v_mad_nc_u64_u32 v[6:7], v1, 24, v[10:11]
	s_delay_alu instid0(VALU_DEP_3) | instskip(NEXT) | instid1(VALU_DEP_1)
	v_and_b32_e32 v1, v3, v13
	v_mad_u32 v7, v1, 24, v7
	global_load_b64 v[10:11], v[6:7], off scope:SCOPE_SYS
	s_wait_xcnt 0x0
	s_wait_loadcnt 0x0
	global_atomic_cmpswap_b64 v[6:7], v0, v[10:13], s[2:3] offset:24 th:TH_ATOMIC_RETURN scope:SCOPE_SYS
	s_wait_loadcnt 0x0
	global_inv scope:SCOPE_SYS
	v_cmp_eq_u64_e32 vcc_lo, v[6:7], v[12:13]
	s_or_b32 s5, vcc_lo, s5
	s_wait_xcnt 0x0
	s_and_not1_b32 exec_lo, exec_lo, s5
	s_cbranch_execnz .LBB1_3
; %bb.4:
	s_or_b32 exec_lo, exec_lo, s5
.LBB1_5:
	s_delay_alu instid0(SALU_CYCLE_1)
	s_or_b32 exec_lo, exec_lo, s4
.LBB1_6:
	s_delay_alu instid0(SALU_CYCLE_1)
	s_or_b32 exec_lo, exec_lo, s1
	s_clause 0x1
	global_load_b64 v[10:11], v8, s[2:3] offset:40
	global_load_b128 v[0:3], v8, s[2:3]
	v_readfirstlane_b32 s4, v6
	v_readfirstlane_b32 s5, v7
	s_mov_b32 s1, exec_lo
	s_wait_loadcnt 0x1
	s_wait_xcnt 0x0
	v_and_b32_e32 v8, s4, v10
	v_and_b32_e32 v9, s5, v11
	s_delay_alu instid0(VALU_DEP_1) | instskip(SKIP_1) | instid1(VALU_DEP_1)
	v_mul_u64_e32 v[6:7], 24, v[8:9]
	s_wait_loadcnt 0x0
	v_add_nc_u64_e32 v[6:7], v[0:1], v[6:7]
	s_and_saveexec_b32 s6, s0
	s_cbranch_execz .LBB1_8
; %bb.7:
	v_mov_b64_e32 v[12:13], 0x100000002
	v_dual_mov_b32 v10, s1 :: v_dual_mov_b32 v11, 0
	global_store_b128 v[6:7], v[10:13], off offset:8
.LBB1_8:
	s_wait_xcnt 0x0
	s_or_b32 exec_lo, exec_lo, s6
	v_lshlrev_b64_e32 v[8:9], 12, v[8:9]
	s_mov_b32 s12, 0
	v_dual_mov_b32 v31, 0 :: v_dual_lshlrev_b32 v30, 6, v48
	s_mov_b32 s14, s12
	s_mov_b32 s15, s12
	;; [unrolled: 1-line block ×3, first 2 shown]
	s_delay_alu instid0(VALU_DEP_2)
	v_add_nc_u64_e32 v[8:9], v[2:3], v[8:9]
	v_mov_b64_e32 v[16:17], s[14:15]
	v_mov_b64_e32 v[14:15], s[12:13]
	v_dual_mov_b32 v10, 33 :: v_dual_mov_b32 v12, 1
	v_dual_mov_b32 v11, v31 :: v_dual_mov_b32 v13, v31
	v_readfirstlane_b32 s6, v8
	v_readfirstlane_b32 s7, v9
	s_clause 0x3
	global_store_b128 v30, v[10:13], s[6:7]
	global_store_b128 v30, v[14:17], s[6:7] offset:16
	global_store_b128 v30, v[14:17], s[6:7] offset:32
	;; [unrolled: 1-line block ×3, first 2 shown]
	s_wait_xcnt 0x0
	s_and_saveexec_b32 s1, s0
	s_cbranch_execz .LBB1_16
; %bb.9:
	s_clause 0x1
	global_load_b64 v[14:15], v31, s[2:3] offset:32 scope:SCOPE_SYS
	global_load_b64 v[2:3], v31, s[2:3] offset:40
	s_mov_b32 s6, exec_lo
	v_dual_mov_b32 v12, s4 :: v_dual_mov_b32 v13, s5
	s_wait_loadcnt 0x0
	v_and_b32_e32 v3, s5, v3
	v_and_b32_e32 v2, s4, v2
	s_delay_alu instid0(VALU_DEP_1) | instskip(NEXT) | instid1(VALU_DEP_1)
	v_mul_u64_e32 v[2:3], 24, v[2:3]
	v_add_nc_u64_e32 v[10:11], v[0:1], v[2:3]
	global_store_b64 v[10:11], v[14:15], off
	global_wb scope:SCOPE_SYS
	s_wait_storecnt 0x0
	s_wait_xcnt 0x0
	global_atomic_cmpswap_b64 v[2:3], v31, v[12:15], s[2:3] offset:32 th:TH_ATOMIC_RETURN scope:SCOPE_SYS
	s_wait_loadcnt 0x0
	v_cmpx_ne_u64_e64 v[2:3], v[14:15]
	s_cbranch_execz .LBB1_12
; %bb.10:
	v_mov_b32_e32 v12, 0
	s_mov_b32 s7, 0
.LBB1_11:                               ; =>This Inner Loop Header: Depth=1
	v_dual_mov_b32 v0, s4 :: v_dual_mov_b32 v1, s5
	s_sleep 1
	global_store_b64 v[10:11], v[2:3], off
	global_wb scope:SCOPE_SYS
	s_wait_storecnt 0x0
	s_wait_xcnt 0x0
	global_atomic_cmpswap_b64 v[0:1], v12, v[0:3], s[2:3] offset:32 th:TH_ATOMIC_RETURN scope:SCOPE_SYS
	s_wait_loadcnt 0x0
	v_cmp_eq_u64_e32 vcc_lo, v[0:1], v[2:3]
	v_mov_b64_e32 v[2:3], v[0:1]
	s_or_b32 s7, vcc_lo, s7
	s_delay_alu instid0(SALU_CYCLE_1)
	s_and_not1_b32 exec_lo, exec_lo, s7
	s_cbranch_execnz .LBB1_11
.LBB1_12:
	s_or_b32 exec_lo, exec_lo, s6
	v_mov_b32_e32 v3, 0
	s_mov_b32 s7, exec_lo
	s_mov_b32 s6, exec_lo
	v_mbcnt_lo_u32_b32 v2, s7, 0
	global_load_b64 v[0:1], v3, s[2:3] offset:16
	s_wait_xcnt 0x0
	v_cmpx_eq_u32_e32 0, v2
	s_cbranch_execz .LBB1_14
; %bb.13:
	s_bcnt1_i32_b32 s7, s7
	s_delay_alu instid0(SALU_CYCLE_1)
	v_mov_b32_e32 v2, s7
	global_wb scope:SCOPE_SYS
	s_wait_loadcnt 0x0
	s_wait_storecnt 0x0
	global_atomic_add_u64 v[0:1], v[2:3], off offset:8 scope:SCOPE_SYS
.LBB1_14:
	s_wait_xcnt 0x0
	s_or_b32 exec_lo, exec_lo, s6
	s_wait_loadcnt 0x0
	global_load_b64 v[2:3], v[0:1], off offset:16
	s_wait_loadcnt 0x0
	v_cmp_eq_u64_e32 vcc_lo, 0, v[2:3]
	s_cbranch_vccnz .LBB1_16
; %bb.15:
	global_load_b32 v0, v[0:1], off offset:24
	s_wait_xcnt 0x0
	v_mov_b32_e32 v1, 0
	s_wait_loadcnt 0x0
	v_readfirstlane_b32 s6, v0
	global_wb scope:SCOPE_SYS
	s_wait_storecnt 0x0
	global_store_b64 v[2:3], v[0:1], off scope:SCOPE_SYS
	s_and_b32 m0, s6, 0xffffff
	s_sendmsg sendmsg(MSG_INTERRUPT)
.LBB1_16:
	s_wait_xcnt 0x0
	s_or_b32 exec_lo, exec_lo, s1
	v_add_nc_u64_e32 v[0:1], v[8:9], v[30:31]
	s_branch .LBB1_20
.LBB1_17:                               ;   in Loop: Header=BB1_20 Depth=1
	s_wait_xcnt 0x0
	s_or_b32 exec_lo, exec_lo, s1
	s_delay_alu instid0(VALU_DEP_1)
	v_readfirstlane_b32 s1, v2
	s_cmp_eq_u32 s1, 0
	s_cbranch_scc1 .LBB1_19
; %bb.18:                               ;   in Loop: Header=BB1_20 Depth=1
	s_sleep 1
	s_cbranch_execnz .LBB1_20
	s_branch .LBB1_22
.LBB1_19:
	s_branch .LBB1_22
.LBB1_20:                               ; =>This Inner Loop Header: Depth=1
	v_mov_b32_e32 v2, 1
	s_and_saveexec_b32 s1, s0
	s_cbranch_execz .LBB1_17
; %bb.21:                               ;   in Loop: Header=BB1_20 Depth=1
	global_load_b32 v2, v[6:7], off offset:20 scope:SCOPE_SYS
	s_wait_loadcnt 0x0
	global_inv scope:SCOPE_SYS
	v_and_b32_e32 v2, 1, v2
	s_branch .LBB1_17
.LBB1_22:
	global_load_b64 v[6:7], v[0:1], off
	s_wait_xcnt 0x0
	s_and_saveexec_b32 s6, s0
	s_cbranch_execz .LBB1_26
; %bb.23:
	v_mov_b32_e32 v10, 0
	s_clause 0x2
	global_load_b64 v[0:1], v10, s[2:3] offset:40
	global_load_b64 v[14:15], v10, s[2:3] offset:24 scope:SCOPE_SYS
	global_load_b64 v[2:3], v10, s[2:3]
	s_wait_loadcnt 0x2
	v_readfirstlane_b32 s10, v0
	v_readfirstlane_b32 s11, v1
	s_add_nc_u64 s[0:1], s[10:11], 1
	s_delay_alu instid0(SALU_CYCLE_1) | instskip(NEXT) | instid1(SALU_CYCLE_1)
	s_add_nc_u64 s[4:5], s[0:1], s[4:5]
	s_cmp_eq_u64 s[4:5], 0
	s_cselect_b32 s1, s1, s5
	s_cselect_b32 s0, s0, s4
	v_mov_b32_e32 v13, s1
	s_and_b64 s[4:5], s[0:1], s[10:11]
	v_mov_b32_e32 v12, s0
	s_mul_u64 s[4:5], s[4:5], 24
	s_wait_loadcnt 0x0
	v_add_nc_u64_e32 v[8:9], s[4:5], v[2:3]
	global_store_b64 v[8:9], v[14:15], off
	global_wb scope:SCOPE_SYS
	s_wait_storecnt 0x0
	s_wait_xcnt 0x0
	global_atomic_cmpswap_b64 v[2:3], v10, v[12:15], s[2:3] offset:24 th:TH_ATOMIC_RETURN scope:SCOPE_SYS
	s_wait_loadcnt 0x0
	v_cmp_ne_u64_e32 vcc_lo, v[2:3], v[14:15]
	s_and_b32 exec_lo, exec_lo, vcc_lo
	s_cbranch_execz .LBB1_26
; %bb.24:
	s_mov_b32 s4, 0
.LBB1_25:                               ; =>This Inner Loop Header: Depth=1
	v_dual_mov_b32 v0, s0 :: v_dual_mov_b32 v1, s1
	s_sleep 1
	global_store_b64 v[8:9], v[2:3], off
	global_wb scope:SCOPE_SYS
	s_wait_storecnt 0x0
	s_wait_xcnt 0x0
	global_atomic_cmpswap_b64 v[0:1], v10, v[0:3], s[2:3] offset:24 th:TH_ATOMIC_RETURN scope:SCOPE_SYS
	s_wait_loadcnt 0x0
	v_cmp_eq_u64_e32 vcc_lo, v[0:1], v[2:3]
	v_mov_b64_e32 v[2:3], v[0:1]
	s_or_b32 s4, vcc_lo, s4
	s_delay_alu instid0(SALU_CYCLE_1)
	s_and_not1_b32 exec_lo, exec_lo, s4
	s_cbranch_execnz .LBB1_25
.LBB1_26:
	s_or_b32 exec_lo, exec_lo, s6
	s_mov_b32 s1, s33
	s_mov_b32 s0, 0
.LBB1_27:                               ; =>This Inner Loop Header: Depth=1
	scratch_load_u8 v0, off, s1
	s_wait_xcnt 0x0
	s_add_co_i32 s1, s1, 1
	s_wait_loadcnt 0x0
	v_cmp_eq_u16_e32 vcc_lo, 0, v0
	v_mov_b32_e32 v0, s1
	s_or_b32 s0, vcc_lo, s0
	s_delay_alu instid0(SALU_CYCLE_1)
	s_and_not1_b32 exec_lo, exec_lo, s0
	s_cbranch_execnz .LBB1_27
; %bb.28:
	s_or_b32 exec_lo, exec_lo, s0
	s_cmp_lg_u32 s33, -1
	s_cbranch_scc0 .LBB1_113
; %bb.29:
	s_mov_b64 s[0:1], src_flat_scratch_base_lo
	v_mov_b64_e32 v[10:11], 0x100000002
	v_dual_add_nc_u32 v0, s0, v0 :: v_dual_bitop2_b32 v28, 2, v6 bitop3:0x40
	s_add_co_i32 s0, s33, s0
	v_dual_mov_b32 v31, 0 :: v_dual_mov_b32 v29, s33
	s_delay_alu instid0(VALU_DEP_2) | instskip(SKIP_3) | instid1(VALU_DEP_2)
	v_subrev_nc_u32_e32 v32, s0, v0
	v_dual_mov_b32 v1, v7 :: v_dual_bitop2_b32 v0, -3, v6 bitop3:0x40
	s_mov_b32 s7, 0
	s_mov_b32 s6, 0
	v_ashrrev_i32_e32 v33, 31, v32
	s_branch .LBB1_31
.LBB1_30:                               ;   in Loop: Header=BB1_31 Depth=1
	s_or_b32 exec_lo, exec_lo, s10
	v_sub_nc_u64_e32 v[32:33], v[32:33], v[34:35]
	v_add_nc_u32_e32 v29, v29, v34
	s_delay_alu instid0(VALU_DEP_2) | instskip(SKIP_1) | instid1(SALU_CYCLE_1)
	v_cmp_eq_u64_e32 vcc_lo, 0, v[32:33]
	s_or_b32 s6, vcc_lo, s6
	s_and_not1_b32 exec_lo, exec_lo, s6
	s_cbranch_execz .LBB1_192
.LBB1_31:                               ; =>This Loop Header: Depth=1
                                        ;     Child Loop BB1_34 Depth 2
                                        ;     Child Loop BB1_42 Depth 2
	;; [unrolled: 1-line block ×11, first 2 shown]
	s_delay_alu instid0(VALU_DEP_1)
	v_min_u64 v[34:35], v[32:33], 56
	v_add_nc_u32_e32 v9, 8, v29
	s_mov_b32 s0, exec_lo
	v_cmpx_gt_u64_e32 8, v[32:33]
	s_xor_b32 s4, exec_lo, s0
	s_cbranch_execz .LBB1_37
; %bb.32:                               ;   in Loop: Header=BB1_31 Depth=1
	v_mov_b64_e32 v[2:3], 0
	s_mov_b32 s5, exec_lo
	v_cmpx_ne_u64_e32 0, v[32:33]
	s_cbranch_execz .LBB1_36
; %bb.33:                               ;   in Loop: Header=BB1_31 Depth=1
	v_mov_b64_e32 v[2:3], 0
	v_dual_mov_b32 v9, v29 :: v_dual_lshlrev_b32 v8, 3, v34
	s_mov_b64 s[0:1], 0
	s_mov_b32 s10, 0
.LBB1_34:                               ;   Parent Loop BB1_31 Depth=1
                                        ; =>  This Inner Loop Header: Depth=2
	scratch_load_u8 v12, v9, off
	s_wait_xcnt 0x0
	v_dual_mov_b32 v13, s7 :: v_dual_add_nc_u32 v9, 1, v9
	s_wait_loadcnt 0x0
	v_and_b32_e32 v12, 0xffff, v12
	s_delay_alu instid0(VALU_DEP_1) | instskip(SKIP_1) | instid1(SALU_CYCLE_1)
	v_lshlrev_b64_e32 v[12:13], s0, v[12:13]
	s_add_nc_u64 s[0:1], s[0:1], 8
	v_cmp_eq_u32_e32 vcc_lo, s0, v8
	s_delay_alu instid0(VALU_DEP_2) | instskip(NEXT) | instid1(VALU_DEP_3)
	v_or_b32_e32 v3, v13, v3
	v_or_b32_e32 v2, v12, v2
	s_or_b32 s10, vcc_lo, s10
	s_delay_alu instid0(SALU_CYCLE_1)
	s_and_not1_b32 exec_lo, exec_lo, s10
	s_cbranch_execnz .LBB1_34
; %bb.35:                               ;   in Loop: Header=BB1_31 Depth=1
	s_or_b32 exec_lo, exec_lo, s10
.LBB1_36:                               ;   in Loop: Header=BB1_31 Depth=1
	s_delay_alu instid0(SALU_CYCLE_1)
	s_or_b32 exec_lo, exec_lo, s5
	v_mov_b32_e32 v9, v29
.LBB1_37:                               ;   in Loop: Header=BB1_31 Depth=1
	s_or_saveexec_b32 s0, s4
	v_mov_b32_e32 v14, 0
	s_xor_b32 exec_lo, exec_lo, s0
	s_cbranch_execz .LBB1_39
; %bb.38:                               ;   in Loop: Header=BB1_31 Depth=1
	scratch_load_b64 v[2:3], v29, off
	v_add_nc_u32_e32 v14, -8, v34
.LBB1_39:                               ;   in Loop: Header=BB1_31 Depth=1
	s_wait_xcnt 0x0
	s_or_b32 exec_lo, exec_lo, s0
	v_add_nc_u32_e32 v8, 8, v9
                                        ; implicit-def: $vgpr12_vgpr13
	s_mov_b32 s0, exec_lo
	v_cmpx_gt_u32_e32 8, v14
	s_xor_b32 s4, exec_lo, s0
	s_cbranch_execz .LBB1_45
; %bb.40:                               ;   in Loop: Header=BB1_31 Depth=1
	v_mov_b64_e32 v[12:13], 0
	s_mov_b32 s5, exec_lo
	v_cmpx_ne_u32_e32 0, v14
	s_cbranch_execz .LBB1_44
; %bb.41:                               ;   in Loop: Header=BB1_31 Depth=1
	v_mov_b64_e32 v[12:13], 0
	s_mov_b64 s[0:1], 0
	s_mov_b32 s10, 0
	s_mov_b32 s11, 0
.LBB1_42:                               ;   Parent Loop BB1_31 Depth=1
                                        ; =>  This Inner Loop Header: Depth=2
	scratch_load_u8 v8, v9, s11
	v_mov_b32_e32 v17, s7
	s_wait_xcnt 0x0
	s_add_co_i32 s11, s11, 1
	s_delay_alu instid0(SALU_CYCLE_1) | instskip(SKIP_3) | instid1(VALU_DEP_1)
	v_cmp_eq_u32_e32 vcc_lo, s11, v14
	s_or_b32 s10, vcc_lo, s10
	s_wait_loadcnt 0x0
	v_and_b32_e32 v16, 0xffff, v8
	v_lshlrev_b64_e32 v[16:17], s0, v[16:17]
	s_add_nc_u64 s[0:1], s[0:1], 8
	s_delay_alu instid0(VALU_DEP_1) | instskip(NEXT) | instid1(VALU_DEP_2)
	v_or_b32_e32 v13, v17, v13
	v_or_b32_e32 v12, v16, v12
	s_and_not1_b32 exec_lo, exec_lo, s10
	s_cbranch_execnz .LBB1_42
; %bb.43:                               ;   in Loop: Header=BB1_31 Depth=1
	s_or_b32 exec_lo, exec_lo, s10
.LBB1_44:                               ;   in Loop: Header=BB1_31 Depth=1
	s_delay_alu instid0(SALU_CYCLE_1)
	s_or_b32 exec_lo, exec_lo, s5
	v_mov_b32_e32 v8, v9
                                        ; implicit-def: $vgpr14
.LBB1_45:                               ;   in Loop: Header=BB1_31 Depth=1
	s_or_saveexec_b32 s0, s4
	v_mov_b32_e32 v16, 0
	s_xor_b32 exec_lo, exec_lo, s0
	s_cbranch_execz .LBB1_47
; %bb.46:                               ;   in Loop: Header=BB1_31 Depth=1
	scratch_load_b64 v[12:13], v9, off
	v_add_nc_u32_e32 v16, -8, v14
.LBB1_47:                               ;   in Loop: Header=BB1_31 Depth=1
	s_wait_xcnt 0x0
	s_or_b32 exec_lo, exec_lo, s0
	v_add_nc_u32_e32 v9, 8, v8
	s_mov_b32 s0, exec_lo
	v_cmpx_gt_u32_e32 8, v16
	s_xor_b32 s4, exec_lo, s0
	s_cbranch_execz .LBB1_53
; %bb.48:                               ;   in Loop: Header=BB1_31 Depth=1
	v_mov_b64_e32 v[14:15], 0
	s_mov_b32 s5, exec_lo
	v_cmpx_ne_u32_e32 0, v16
	s_cbranch_execz .LBB1_52
; %bb.49:                               ;   in Loop: Header=BB1_31 Depth=1
	v_mov_b64_e32 v[14:15], 0
	s_mov_b64 s[0:1], 0
	s_mov_b32 s10, 0
	s_mov_b32 s11, 0
.LBB1_50:                               ;   Parent Loop BB1_31 Depth=1
                                        ; =>  This Inner Loop Header: Depth=2
	scratch_load_u8 v9, v8, s11
	v_mov_b32_e32 v19, s7
	s_wait_xcnt 0x0
	s_add_co_i32 s11, s11, 1
	s_delay_alu instid0(SALU_CYCLE_1) | instskip(SKIP_3) | instid1(VALU_DEP_1)
	v_cmp_eq_u32_e32 vcc_lo, s11, v16
	s_or_b32 s10, vcc_lo, s10
	s_wait_loadcnt 0x0
	v_and_b32_e32 v18, 0xffff, v9
	v_lshlrev_b64_e32 v[18:19], s0, v[18:19]
	s_add_nc_u64 s[0:1], s[0:1], 8
	s_delay_alu instid0(VALU_DEP_1) | instskip(NEXT) | instid1(VALU_DEP_2)
	v_or_b32_e32 v15, v19, v15
	v_or_b32_e32 v14, v18, v14
	s_and_not1_b32 exec_lo, exec_lo, s10
	s_cbranch_execnz .LBB1_50
; %bb.51:                               ;   in Loop: Header=BB1_31 Depth=1
	s_or_b32 exec_lo, exec_lo, s10
.LBB1_52:                               ;   in Loop: Header=BB1_31 Depth=1
	s_delay_alu instid0(SALU_CYCLE_1)
	s_or_b32 exec_lo, exec_lo, s5
	v_mov_b32_e32 v9, v8
                                        ; implicit-def: $vgpr16
.LBB1_53:                               ;   in Loop: Header=BB1_31 Depth=1
	s_or_saveexec_b32 s0, s4
	v_mov_b32_e32 v18, 0
	s_xor_b32 exec_lo, exec_lo, s0
	s_cbranch_execz .LBB1_55
; %bb.54:                               ;   in Loop: Header=BB1_31 Depth=1
	scratch_load_b64 v[14:15], v8, off
	v_add_nc_u32_e32 v18, -8, v16
.LBB1_55:                               ;   in Loop: Header=BB1_31 Depth=1
	s_wait_xcnt 0x0
	s_or_b32 exec_lo, exec_lo, s0
	v_add_nc_u32_e32 v8, 8, v9
                                        ; implicit-def: $vgpr16_vgpr17
	s_mov_b32 s0, exec_lo
	v_cmpx_gt_u32_e32 8, v18
	s_xor_b32 s4, exec_lo, s0
	s_cbranch_execz .LBB1_61
; %bb.56:                               ;   in Loop: Header=BB1_31 Depth=1
	v_mov_b64_e32 v[16:17], 0
	s_mov_b32 s5, exec_lo
	v_cmpx_ne_u32_e32 0, v18
	s_cbranch_execz .LBB1_60
; %bb.57:                               ;   in Loop: Header=BB1_31 Depth=1
	v_mov_b64_e32 v[16:17], 0
	s_mov_b64 s[0:1], 0
	s_mov_b32 s10, 0
	s_mov_b32 s11, 0
.LBB1_58:                               ;   Parent Loop BB1_31 Depth=1
                                        ; =>  This Inner Loop Header: Depth=2
	scratch_load_u8 v8, v9, s11
	v_mov_b32_e32 v21, s7
	s_wait_xcnt 0x0
	s_add_co_i32 s11, s11, 1
	s_delay_alu instid0(SALU_CYCLE_1) | instskip(SKIP_3) | instid1(VALU_DEP_1)
	v_cmp_eq_u32_e32 vcc_lo, s11, v18
	s_or_b32 s10, vcc_lo, s10
	s_wait_loadcnt 0x0
	v_and_b32_e32 v20, 0xffff, v8
	v_lshlrev_b64_e32 v[20:21], s0, v[20:21]
	s_add_nc_u64 s[0:1], s[0:1], 8
	s_delay_alu instid0(VALU_DEP_1) | instskip(NEXT) | instid1(VALU_DEP_2)
	v_or_b32_e32 v17, v21, v17
	v_or_b32_e32 v16, v20, v16
	s_and_not1_b32 exec_lo, exec_lo, s10
	s_cbranch_execnz .LBB1_58
; %bb.59:                               ;   in Loop: Header=BB1_31 Depth=1
	s_or_b32 exec_lo, exec_lo, s10
.LBB1_60:                               ;   in Loop: Header=BB1_31 Depth=1
	s_delay_alu instid0(SALU_CYCLE_1)
	s_or_b32 exec_lo, exec_lo, s5
	v_mov_b32_e32 v8, v9
                                        ; implicit-def: $vgpr18
.LBB1_61:                               ;   in Loop: Header=BB1_31 Depth=1
	s_or_saveexec_b32 s0, s4
	v_mov_b32_e32 v20, 0
	s_xor_b32 exec_lo, exec_lo, s0
	s_cbranch_execz .LBB1_63
; %bb.62:                               ;   in Loop: Header=BB1_31 Depth=1
	scratch_load_b64 v[16:17], v9, off
	v_add_nc_u32_e32 v20, -8, v18
.LBB1_63:                               ;   in Loop: Header=BB1_31 Depth=1
	s_wait_xcnt 0x0
	s_or_b32 exec_lo, exec_lo, s0
	v_add_nc_u32_e32 v9, 8, v8
	s_mov_b32 s0, exec_lo
	v_cmpx_gt_u32_e32 8, v20
	s_xor_b32 s4, exec_lo, s0
	s_cbranch_execz .LBB1_69
; %bb.64:                               ;   in Loop: Header=BB1_31 Depth=1
	v_mov_b64_e32 v[18:19], 0
	s_mov_b32 s5, exec_lo
	v_cmpx_ne_u32_e32 0, v20
	s_cbranch_execz .LBB1_68
; %bb.65:                               ;   in Loop: Header=BB1_31 Depth=1
	v_mov_b64_e32 v[18:19], 0
	s_mov_b64 s[0:1], 0
	s_mov_b32 s10, 0
	s_mov_b32 s11, 0
.LBB1_66:                               ;   Parent Loop BB1_31 Depth=1
                                        ; =>  This Inner Loop Header: Depth=2
	scratch_load_u8 v9, v8, s11
	v_mov_b32_e32 v23, s7
	s_wait_xcnt 0x0
	s_add_co_i32 s11, s11, 1
	s_delay_alu instid0(SALU_CYCLE_1) | instskip(SKIP_3) | instid1(VALU_DEP_1)
	v_cmp_eq_u32_e32 vcc_lo, s11, v20
	s_or_b32 s10, vcc_lo, s10
	s_wait_loadcnt 0x0
	v_and_b32_e32 v22, 0xffff, v9
	v_lshlrev_b64_e32 v[22:23], s0, v[22:23]
	s_add_nc_u64 s[0:1], s[0:1], 8
	s_delay_alu instid0(VALU_DEP_1) | instskip(NEXT) | instid1(VALU_DEP_2)
	v_or_b32_e32 v19, v23, v19
	v_or_b32_e32 v18, v22, v18
	s_and_not1_b32 exec_lo, exec_lo, s10
	s_cbranch_execnz .LBB1_66
; %bb.67:                               ;   in Loop: Header=BB1_31 Depth=1
	s_or_b32 exec_lo, exec_lo, s10
.LBB1_68:                               ;   in Loop: Header=BB1_31 Depth=1
	s_delay_alu instid0(SALU_CYCLE_1)
	s_or_b32 exec_lo, exec_lo, s5
	v_mov_b32_e32 v9, v8
                                        ; implicit-def: $vgpr20
.LBB1_69:                               ;   in Loop: Header=BB1_31 Depth=1
	s_or_saveexec_b32 s0, s4
	v_mov_b32_e32 v22, 0
	s_xor_b32 exec_lo, exec_lo, s0
	s_cbranch_execz .LBB1_71
; %bb.70:                               ;   in Loop: Header=BB1_31 Depth=1
	scratch_load_b64 v[18:19], v8, off
	v_add_nc_u32_e32 v22, -8, v20
.LBB1_71:                               ;   in Loop: Header=BB1_31 Depth=1
	s_wait_xcnt 0x0
	s_or_b32 exec_lo, exec_lo, s0
	v_add_nc_u32_e32 v8, 8, v9
                                        ; implicit-def: $vgpr20_vgpr21
	s_mov_b32 s0, exec_lo
	v_cmpx_gt_u32_e32 8, v22
	s_xor_b32 s4, exec_lo, s0
	s_cbranch_execz .LBB1_77
; %bb.72:                               ;   in Loop: Header=BB1_31 Depth=1
	v_mov_b64_e32 v[20:21], 0
	s_mov_b32 s5, exec_lo
	v_cmpx_ne_u32_e32 0, v22
	s_cbranch_execz .LBB1_76
; %bb.73:                               ;   in Loop: Header=BB1_31 Depth=1
	v_mov_b64_e32 v[20:21], 0
	s_mov_b64 s[0:1], 0
	s_mov_b32 s10, 0
	s_mov_b32 s11, 0
.LBB1_74:                               ;   Parent Loop BB1_31 Depth=1
                                        ; =>  This Inner Loop Header: Depth=2
	scratch_load_u8 v8, v9, s11
	v_mov_b32_e32 v25, s7
	s_wait_xcnt 0x0
	s_add_co_i32 s11, s11, 1
	s_delay_alu instid0(SALU_CYCLE_1) | instskip(SKIP_3) | instid1(VALU_DEP_1)
	v_cmp_eq_u32_e32 vcc_lo, s11, v22
	s_or_b32 s10, vcc_lo, s10
	s_wait_loadcnt 0x0
	v_and_b32_e32 v24, 0xffff, v8
	v_lshlrev_b64_e32 v[24:25], s0, v[24:25]
	s_add_nc_u64 s[0:1], s[0:1], 8
	s_delay_alu instid0(VALU_DEP_1) | instskip(NEXT) | instid1(VALU_DEP_2)
	v_or_b32_e32 v21, v25, v21
	v_or_b32_e32 v20, v24, v20
	s_and_not1_b32 exec_lo, exec_lo, s10
	s_cbranch_execnz .LBB1_74
; %bb.75:                               ;   in Loop: Header=BB1_31 Depth=1
	s_or_b32 exec_lo, exec_lo, s10
.LBB1_76:                               ;   in Loop: Header=BB1_31 Depth=1
	s_delay_alu instid0(SALU_CYCLE_1)
	s_or_b32 exec_lo, exec_lo, s5
	v_mov_b32_e32 v8, v9
                                        ; implicit-def: $vgpr22
.LBB1_77:                               ;   in Loop: Header=BB1_31 Depth=1
	s_or_saveexec_b32 s0, s4
	v_mov_b32_e32 v24, 0
	s_xor_b32 exec_lo, exec_lo, s0
	s_cbranch_execz .LBB1_79
; %bb.78:                               ;   in Loop: Header=BB1_31 Depth=1
	scratch_load_b64 v[20:21], v9, off
	v_add_nc_u32_e32 v24, -8, v22
.LBB1_79:                               ;   in Loop: Header=BB1_31 Depth=1
	s_wait_xcnt 0x0
	s_or_b32 exec_lo, exec_lo, s0
	s_delay_alu instid0(SALU_CYCLE_1) | instskip(NEXT) | instid1(VALU_DEP_1)
	s_mov_b32 s0, exec_lo
	v_cmpx_gt_u32_e32 8, v24
	s_xor_b32 s4, exec_lo, s0
	s_cbranch_execz .LBB1_85
; %bb.80:                               ;   in Loop: Header=BB1_31 Depth=1
	v_mov_b64_e32 v[22:23], 0
	s_mov_b32 s5, exec_lo
	v_cmpx_ne_u32_e32 0, v24
	s_cbranch_execz .LBB1_84
; %bb.81:                               ;   in Loop: Header=BB1_31 Depth=1
	v_mov_b64_e32 v[22:23], 0
	s_mov_b64 s[0:1], 0
	s_mov_b32 s10, 0
.LBB1_82:                               ;   Parent Loop BB1_31 Depth=1
                                        ; =>  This Inner Loop Header: Depth=2
	scratch_load_u8 v9, v8, off
	v_dual_mov_b32 v27, s7 :: v_dual_add_nc_u32 v24, -1, v24
	s_delay_alu instid0(VALU_DEP_1) | instskip(SKIP_3) | instid1(VALU_DEP_1)
	v_cmp_eq_u32_e32 vcc_lo, 0, v24
	s_or_b32 s10, vcc_lo, s10
	s_wait_loadcnt 0x0
	v_and_b32_e32 v26, 0xffff, v9
	v_lshlrev_b64_e32 v[26:27], s0, v[26:27]
	s_wait_xcnt 0x0
	v_add_nc_u32_e32 v8, 1, v8
	s_add_nc_u64 s[0:1], s[0:1], 8
	s_delay_alu instid0(VALU_DEP_2) | instskip(NEXT) | instid1(VALU_DEP_3)
	v_or_b32_e32 v23, v27, v23
	v_or_b32_e32 v22, v26, v22
	s_and_not1_b32 exec_lo, exec_lo, s10
	s_cbranch_execnz .LBB1_82
; %bb.83:                               ;   in Loop: Header=BB1_31 Depth=1
	s_or_b32 exec_lo, exec_lo, s10
.LBB1_84:                               ;   in Loop: Header=BB1_31 Depth=1
	s_delay_alu instid0(SALU_CYCLE_1)
	s_or_b32 exec_lo, exec_lo, s5
                                        ; implicit-def: $vgpr8
.LBB1_85:                               ;   in Loop: Header=BB1_31 Depth=1
	s_and_not1_saveexec_b32 s0, s4
	s_cbranch_execz .LBB1_87
; %bb.86:                               ;   in Loop: Header=BB1_31 Depth=1
	scratch_load_b64 v[22:23], v8, off
.LBB1_87:                               ;   in Loop: Header=BB1_31 Depth=1
	s_wait_xcnt 0x0
	s_or_b32 exec_lo, exec_lo, s0
	v_readfirstlane_b32 s0, v48
	v_mov_b64_e32 v[8:9], 0
	s_delay_alu instid0(VALU_DEP_2)
	v_cmp_eq_u32_e64 s0, s0, v48
	s_and_saveexec_b32 s1, s0
	s_cbranch_execz .LBB1_93
; %bb.88:                               ;   in Loop: Header=BB1_31 Depth=1
	global_load_b64 v[26:27], v31, s[2:3] offset:24 scope:SCOPE_SYS
	s_wait_loadcnt 0x0
	global_inv scope:SCOPE_SYS
	s_clause 0x1
	global_load_b64 v[8:9], v31, s[2:3] offset:40
	global_load_b64 v[24:25], v31, s[2:3]
	s_mov_b32 s4, exec_lo
	s_wait_loadcnt 0x1
	v_and_b32_e32 v8, v8, v26
	v_and_b32_e32 v9, v9, v27
	s_delay_alu instid0(VALU_DEP_1) | instskip(SKIP_1) | instid1(VALU_DEP_1)
	v_mul_u64_e32 v[8:9], 24, v[8:9]
	s_wait_loadcnt 0x0
	v_add_nc_u64_e32 v[8:9], v[24:25], v[8:9]
	global_load_b64 v[24:25], v[8:9], off scope:SCOPE_SYS
	s_wait_xcnt 0x0
	s_wait_loadcnt 0x0
	global_atomic_cmpswap_b64 v[8:9], v31, v[24:27], s[2:3] offset:24 th:TH_ATOMIC_RETURN scope:SCOPE_SYS
	s_wait_loadcnt 0x0
	global_inv scope:SCOPE_SYS
	s_wait_xcnt 0x0
	v_cmpx_ne_u64_e64 v[8:9], v[26:27]
	s_cbranch_execz .LBB1_92
; %bb.89:                               ;   in Loop: Header=BB1_31 Depth=1
	s_mov_b32 s5, 0
.LBB1_90:                               ;   Parent Loop BB1_31 Depth=1
                                        ; =>  This Inner Loop Header: Depth=2
	s_sleep 1
	s_clause 0x1
	global_load_b64 v[24:25], v31, s[2:3] offset:40
	global_load_b64 v[36:37], v31, s[2:3]
	v_mov_b64_e32 v[26:27], v[8:9]
	s_wait_loadcnt 0x1
	s_delay_alu instid0(VALU_DEP_1) | instskip(NEXT) | instid1(VALU_DEP_2)
	v_and_b32_e32 v8, v24, v26
	v_and_b32_e32 v24, v25, v27
	s_wait_loadcnt 0x0
	s_delay_alu instid0(VALU_DEP_2) | instskip(NEXT) | instid1(VALU_DEP_1)
	v_mad_nc_u64_u32 v[8:9], v8, 24, v[36:37]
	v_mad_u32 v9, v24, 24, v9
	global_load_b64 v[24:25], v[8:9], off scope:SCOPE_SYS
	s_wait_xcnt 0x0
	s_wait_loadcnt 0x0
	global_atomic_cmpswap_b64 v[8:9], v31, v[24:27], s[2:3] offset:24 th:TH_ATOMIC_RETURN scope:SCOPE_SYS
	s_wait_loadcnt 0x0
	global_inv scope:SCOPE_SYS
	v_cmp_eq_u64_e32 vcc_lo, v[8:9], v[26:27]
	s_or_b32 s5, vcc_lo, s5
	s_wait_xcnt 0x0
	s_and_not1_b32 exec_lo, exec_lo, s5
	s_cbranch_execnz .LBB1_90
; %bb.91:                               ;   in Loop: Header=BB1_31 Depth=1
	s_or_b32 exec_lo, exec_lo, s5
.LBB1_92:                               ;   in Loop: Header=BB1_31 Depth=1
	s_delay_alu instid0(SALU_CYCLE_1)
	s_or_b32 exec_lo, exec_lo, s4
.LBB1_93:                               ;   in Loop: Header=BB1_31 Depth=1
	s_delay_alu instid0(SALU_CYCLE_1)
	s_or_b32 exec_lo, exec_lo, s1
	s_clause 0x1
	global_load_b64 v[36:37], v31, s[2:3] offset:40
	global_load_b128 v[24:27], v31, s[2:3]
	v_readfirstlane_b32 s4, v8
	v_readfirstlane_b32 s5, v9
	s_mov_b32 s1, exec_lo
	s_wait_loadcnt 0x1
	v_and_b32_e32 v38, s4, v36
	v_and_b32_e32 v39, s5, v37
	s_delay_alu instid0(VALU_DEP_1) | instskip(SKIP_1) | instid1(VALU_DEP_1)
	v_mul_u64_e32 v[8:9], 24, v[38:39]
	s_wait_loadcnt 0x0
	v_add_nc_u64_e32 v[36:37], v[24:25], v[8:9]
	s_wait_xcnt 0x0
	s_and_saveexec_b32 s10, s0
	s_cbranch_execz .LBB1_95
; %bb.94:                               ;   in Loop: Header=BB1_31 Depth=1
	v_dual_mov_b32 v8, s1 :: v_dual_mov_b32 v9, v31
	global_store_b128 v[36:37], v[8:11], off offset:8
.LBB1_95:                               ;   in Loop: Header=BB1_31 Depth=1
	s_wait_xcnt 0x0
	s_or_b32 exec_lo, exec_lo, s10
	v_cmp_gt_u64_e32 vcc_lo, 57, v[32:33]
	v_lshlrev_b64_e32 v[8:9], 12, v[38:39]
	v_and_b32_e32 v0, 0xffffff1f, v0
	v_lshl_add_u32 v39, v34, 2, 28
	v_cndmask_b32_e32 v38, 0, v28, vcc_lo
	s_delay_alu instid0(VALU_DEP_4) | instskip(NEXT) | instid1(VALU_DEP_2)
	v_add_nc_u64_e32 v[8:9], v[26:27], v[8:9]
	v_or_b32_e32 v0, v0, v38
	s_delay_alu instid0(VALU_DEP_2) | instskip(NEXT) | instid1(VALU_DEP_3)
	v_readfirstlane_b32 s10, v8
	v_readfirstlane_b32 s11, v9
	s_delay_alu instid0(VALU_DEP_3)
	v_and_or_b32 v0, 0x1e0, v39, v0
	s_clause 0x3
	global_store_b128 v30, v[0:3], s[10:11]
	global_store_b128 v30, v[12:15], s[10:11] offset:16
	global_store_b128 v30, v[16:19], s[10:11] offset:32
	;; [unrolled: 1-line block ×3, first 2 shown]
	s_wait_xcnt 0x0
	s_and_saveexec_b32 s1, s0
	s_cbranch_execz .LBB1_103
; %bb.96:                               ;   in Loop: Header=BB1_31 Depth=1
	s_clause 0x1
	global_load_b64 v[16:17], v31, s[2:3] offset:32 scope:SCOPE_SYS
	global_load_b64 v[0:1], v31, s[2:3] offset:40
	s_mov_b32 s10, exec_lo
	v_dual_mov_b32 v14, s4 :: v_dual_mov_b32 v15, s5
	s_wait_loadcnt 0x0
	v_and_b32_e32 v1, s5, v1
	v_and_b32_e32 v0, s4, v0
	s_delay_alu instid0(VALU_DEP_1) | instskip(NEXT) | instid1(VALU_DEP_1)
	v_mul_u64_e32 v[0:1], 24, v[0:1]
	v_add_nc_u64_e32 v[12:13], v[24:25], v[0:1]
	global_store_b64 v[12:13], v[16:17], off
	global_wb scope:SCOPE_SYS
	s_wait_storecnt 0x0
	s_wait_xcnt 0x0
	global_atomic_cmpswap_b64 v[2:3], v31, v[14:17], s[2:3] offset:32 th:TH_ATOMIC_RETURN scope:SCOPE_SYS
	s_wait_loadcnt 0x0
	v_cmpx_ne_u64_e64 v[2:3], v[16:17]
	s_cbranch_execz .LBB1_99
; %bb.97:                               ;   in Loop: Header=BB1_31 Depth=1
	s_mov_b32 s11, 0
.LBB1_98:                               ;   Parent Loop BB1_31 Depth=1
                                        ; =>  This Inner Loop Header: Depth=2
	v_dual_mov_b32 v0, s4 :: v_dual_mov_b32 v1, s5
	s_sleep 1
	global_store_b64 v[12:13], v[2:3], off
	global_wb scope:SCOPE_SYS
	s_wait_storecnt 0x0
	s_wait_xcnt 0x0
	global_atomic_cmpswap_b64 v[0:1], v31, v[0:3], s[2:3] offset:32 th:TH_ATOMIC_RETURN scope:SCOPE_SYS
	s_wait_loadcnt 0x0
	v_cmp_eq_u64_e32 vcc_lo, v[0:1], v[2:3]
	v_mov_b64_e32 v[2:3], v[0:1]
	s_or_b32 s11, vcc_lo, s11
	s_delay_alu instid0(SALU_CYCLE_1)
	s_and_not1_b32 exec_lo, exec_lo, s11
	s_cbranch_execnz .LBB1_98
.LBB1_99:                               ;   in Loop: Header=BB1_31 Depth=1
	s_or_b32 exec_lo, exec_lo, s10
	global_load_b64 v[0:1], v31, s[2:3] offset:16
	s_mov_b32 s11, exec_lo
	s_mov_b32 s10, exec_lo
	v_mbcnt_lo_u32_b32 v2, s11, 0
	s_wait_xcnt 0x0
	s_delay_alu instid0(VALU_DEP_1)
	v_cmpx_eq_u32_e32 0, v2
	s_cbranch_execz .LBB1_101
; %bb.100:                              ;   in Loop: Header=BB1_31 Depth=1
	s_bcnt1_i32_b32 s11, s11
	s_delay_alu instid0(SALU_CYCLE_1)
	v_dual_mov_b32 v3, v31 :: v_dual_mov_b32 v2, s11
	global_wb scope:SCOPE_SYS
	s_wait_loadcnt 0x0
	s_wait_storecnt 0x0
	global_atomic_add_u64 v[0:1], v[2:3], off offset:8 scope:SCOPE_SYS
.LBB1_101:                              ;   in Loop: Header=BB1_31 Depth=1
	s_wait_xcnt 0x0
	s_or_b32 exec_lo, exec_lo, s10
	s_wait_loadcnt 0x0
	global_load_b64 v[2:3], v[0:1], off offset:16
	s_wait_loadcnt 0x0
	v_cmp_eq_u64_e32 vcc_lo, 0, v[2:3]
	s_cbranch_vccnz .LBB1_103
; %bb.102:                              ;   in Loop: Header=BB1_31 Depth=1
	global_load_b32 v0, v[0:1], off offset:24
	s_wait_xcnt 0x0
	v_mov_b32_e32 v1, v31
	s_wait_loadcnt 0x0
	v_readfirstlane_b32 s10, v0
	global_wb scope:SCOPE_SYS
	s_wait_storecnt 0x0
	global_store_b64 v[2:3], v[0:1], off scope:SCOPE_SYS
	s_and_b32 m0, s10, 0xffffff
	s_sendmsg sendmsg(MSG_INTERRUPT)
.LBB1_103:                              ;   in Loop: Header=BB1_31 Depth=1
	s_wait_xcnt 0x0
	s_or_b32 exec_lo, exec_lo, s1
	v_add_nc_u64_e32 v[0:1], v[8:9], v[30:31]
	s_branch .LBB1_107
.LBB1_104:                              ;   in Loop: Header=BB1_107 Depth=2
	s_wait_xcnt 0x0
	s_or_b32 exec_lo, exec_lo, s1
	s_delay_alu instid0(VALU_DEP_1)
	v_readfirstlane_b32 s1, v2
	s_cmp_eq_u32 s1, 0
	s_cbranch_scc1 .LBB1_106
; %bb.105:                              ;   in Loop: Header=BB1_107 Depth=2
	s_sleep 1
	s_cbranch_execnz .LBB1_107
	s_branch .LBB1_109
.LBB1_106:                              ;   in Loop: Header=BB1_31 Depth=1
	s_branch .LBB1_109
.LBB1_107:                              ;   Parent Loop BB1_31 Depth=1
                                        ; =>  This Inner Loop Header: Depth=2
	v_mov_b32_e32 v2, 1
	s_and_saveexec_b32 s1, s0
	s_cbranch_execz .LBB1_104
; %bb.108:                              ;   in Loop: Header=BB1_107 Depth=2
	global_load_b32 v2, v[36:37], off offset:20 scope:SCOPE_SYS
	s_wait_loadcnt 0x0
	global_inv scope:SCOPE_SYS
	v_and_b32_e32 v2, 1, v2
	s_branch .LBB1_104
.LBB1_109:                              ;   in Loop: Header=BB1_31 Depth=1
	global_load_b64 v[0:1], v[0:1], off
	s_wait_xcnt 0x0
	s_and_saveexec_b32 s10, s0
	s_cbranch_execz .LBB1_30
; %bb.110:                              ;   in Loop: Header=BB1_31 Depth=1
	s_clause 0x2
	global_load_b64 v[2:3], v31, s[2:3] offset:40
	global_load_b64 v[16:17], v31, s[2:3] offset:24 scope:SCOPE_SYS
	global_load_b64 v[8:9], v31, s[2:3]
	s_wait_loadcnt 0x2
	v_readfirstlane_b32 s12, v2
	v_readfirstlane_b32 s13, v3
	s_add_nc_u64 s[0:1], s[12:13], 1
	s_delay_alu instid0(SALU_CYCLE_1) | instskip(NEXT) | instid1(SALU_CYCLE_1)
	s_add_nc_u64 s[4:5], s[0:1], s[4:5]
	s_cmp_eq_u64 s[4:5], 0
	s_cselect_b32 s1, s1, s5
	s_cselect_b32 s0, s0, s4
	s_delay_alu instid0(SALU_CYCLE_1) | instskip(SKIP_1) | instid1(SALU_CYCLE_1)
	v_dual_mov_b32 v15, s1 :: v_dual_mov_b32 v14, s0
	s_and_b64 s[4:5], s[0:1], s[12:13]
	s_mul_u64 s[4:5], s[4:5], 24
	s_wait_loadcnt 0x0
	v_add_nc_u64_e32 v[2:3], s[4:5], v[8:9]
	global_store_b64 v[2:3], v[16:17], off
	global_wb scope:SCOPE_SYS
	s_wait_storecnt 0x0
	s_wait_xcnt 0x0
	global_atomic_cmpswap_b64 v[14:15], v31, v[14:17], s[2:3] offset:24 th:TH_ATOMIC_RETURN scope:SCOPE_SYS
	s_wait_loadcnt 0x0
	v_cmp_ne_u64_e32 vcc_lo, v[14:15], v[16:17]
	s_and_b32 exec_lo, exec_lo, vcc_lo
	s_cbranch_execz .LBB1_30
; %bb.111:                              ;   in Loop: Header=BB1_31 Depth=1
	s_mov_b32 s4, 0
.LBB1_112:                              ;   Parent Loop BB1_31 Depth=1
                                        ; =>  This Inner Loop Header: Depth=2
	v_dual_mov_b32 v12, s0 :: v_dual_mov_b32 v13, s1
	s_sleep 1
	global_store_b64 v[2:3], v[14:15], off
	global_wb scope:SCOPE_SYS
	s_wait_storecnt 0x0
	s_wait_xcnt 0x0
	global_atomic_cmpswap_b64 v[8:9], v31, v[12:15], s[2:3] offset:24 th:TH_ATOMIC_RETURN scope:SCOPE_SYS
	s_wait_loadcnt 0x0
	v_cmp_eq_u64_e32 vcc_lo, v[8:9], v[14:15]
	v_mov_b64_e32 v[14:15], v[8:9]
	s_or_b32 s4, vcc_lo, s4
	s_delay_alu instid0(SALU_CYCLE_1)
	s_and_not1_b32 exec_lo, exec_lo, s4
	s_cbranch_execnz .LBB1_112
	s_branch .LBB1_30
.LBB1_113:
                                        ; implicit-def: $vgpr0_vgpr1
	s_cbranch_execnz .LBB1_193
.LBB1_114:
	s_get_pc_i64 s[4:5]
	s_add_nc_u64 s[4:5], s[4:5], .str.4@rel64+4
	s_delay_alu instid0(SALU_CYCLE_1)
	s_cmp_lg_u64 s[4:5], 0
	s_cbranch_scc0 .LBB1_221
.LBB1_115:
	v_mov_b64_e32 v[12:13], 0x100000002
	s_get_pc_i64 s[0:1]
	s_add_nc_u64 s[0:1], s[0:1], .str.4@rel64+80
	s_wait_loadcnt 0x0
	v_dual_mov_b32 v11, 0 :: v_dual_bitop2_b32 v2, 2, v0 bitop3:0x40
	v_dual_mov_b32 v7, v1 :: v_dual_bitop2_b32 v6, -3, v0 bitop3:0x40
	s_sub_co_i32 s6, s0, s4
	s_delay_alu instid0(SALU_CYCLE_1)
	s_ashr_i32 s7, s6, 31
	s_branch .LBB1_117
.LBB1_116:                              ;   in Loop: Header=BB1_117 Depth=1
	s_or_b32 exec_lo, exec_lo, s14
	s_sub_nc_u64 s[6:7], s[6:7], s[10:11]
	s_add_nc_u64 s[4:5], s[4:5], s[10:11]
	s_cmp_lg_u64 s[6:7], 0
	s_cbranch_scc0 .LBB1_215
.LBB1_117:                              ; =>This Loop Header: Depth=1
                                        ;     Child Loop BB1_120 Depth 2
                                        ;     Child Loop BB1_127 Depth 2
	;; [unrolled: 1-line block ×11, first 2 shown]
	v_min_u64 v[8:9], s[6:7], 56
	v_cmp_gt_u64_e64 s0, s[6:7], 7
	s_and_b32 vcc_lo, exec_lo, s0
	v_readfirstlane_b32 s10, v8
	v_readfirstlane_b32 s11, v9
	s_cbranch_vccnz .LBB1_122
; %bb.118:                              ;   in Loop: Header=BB1_117 Depth=1
	v_mov_b64_e32 v[8:9], 0
	s_cmp_eq_u64 s[6:7], 0
	s_cbranch_scc1 .LBB1_121
; %bb.119:                              ;   in Loop: Header=BB1_117 Depth=1
	s_mov_b64 s[0:1], 0
	s_mov_b64 s[12:13], 0
.LBB1_120:                              ;   Parent Loop BB1_117 Depth=1
                                        ; =>  This Inner Loop Header: Depth=2
	s_wait_xcnt 0x0
	s_add_nc_u64 s[14:15], s[4:5], s[12:13]
	s_add_nc_u64 s[12:13], s[12:13], 1
	global_load_u8 v3, v11, s[14:15]
	s_cmp_lg_u32 s10, s12
	s_wait_loadcnt 0x0
	v_and_b32_e32 v10, 0xffff, v3
	s_delay_alu instid0(VALU_DEP_1) | instskip(SKIP_1) | instid1(VALU_DEP_1)
	v_lshlrev_b64_e32 v[14:15], s0, v[10:11]
	s_add_nc_u64 s[0:1], s[0:1], 8
	v_or_b32_e32 v8, v14, v8
	s_delay_alu instid0(VALU_DEP_2)
	v_or_b32_e32 v9, v15, v9
	s_cbranch_scc1 .LBB1_120
.LBB1_121:                              ;   in Loop: Header=BB1_117 Depth=1
	s_mov_b64 s[12:13], s[4:5]
	s_mov_b32 s16, 0
	s_cbranch_execz .LBB1_123
	s_branch .LBB1_124
.LBB1_122:                              ;   in Loop: Header=BB1_117 Depth=1
	s_add_nc_u64 s[12:13], s[4:5], 8
	s_mov_b32 s16, 0
.LBB1_123:                              ;   in Loop: Header=BB1_117 Depth=1
	global_load_b64 v[8:9], v11, s[4:5]
	s_add_co_i32 s16, s10, -8
.LBB1_124:                              ;   in Loop: Header=BB1_117 Depth=1
	s_delay_alu instid0(SALU_CYCLE_1)
	s_cmp_gt_u32 s16, 7
	s_cbranch_scc1 .LBB1_129
; %bb.125:                              ;   in Loop: Header=BB1_117 Depth=1
	v_mov_b64_e32 v[14:15], 0
	s_cmp_eq_u32 s16, 0
	s_cbranch_scc1 .LBB1_128
; %bb.126:                              ;   in Loop: Header=BB1_117 Depth=1
	s_mov_b64 s[0:1], 0
	s_wait_xcnt 0x0
	s_mov_b64 s[14:15], 0
.LBB1_127:                              ;   Parent Loop BB1_117 Depth=1
                                        ; =>  This Inner Loop Header: Depth=2
	s_wait_xcnt 0x0
	s_add_nc_u64 s[18:19], s[12:13], s[14:15]
	s_add_nc_u64 s[14:15], s[14:15], 1
	global_load_u8 v3, v11, s[18:19]
	s_cmp_lg_u32 s16, s14
	s_wait_loadcnt 0x0
	v_and_b32_e32 v10, 0xffff, v3
	s_delay_alu instid0(VALU_DEP_1) | instskip(SKIP_1) | instid1(VALU_DEP_1)
	v_lshlrev_b64_e32 v[16:17], s0, v[10:11]
	s_add_nc_u64 s[0:1], s[0:1], 8
	v_or_b32_e32 v14, v16, v14
	s_delay_alu instid0(VALU_DEP_2)
	v_or_b32_e32 v15, v17, v15
	s_cbranch_scc1 .LBB1_127
.LBB1_128:                              ;   in Loop: Header=BB1_117 Depth=1
	s_wait_xcnt 0x0
	s_mov_b64 s[0:1], s[12:13]
	s_mov_b32 s17, 0
	s_cbranch_execz .LBB1_130
	s_branch .LBB1_131
.LBB1_129:                              ;   in Loop: Header=BB1_117 Depth=1
	s_add_nc_u64 s[0:1], s[12:13], 8
	s_wait_xcnt 0x0
                                        ; implicit-def: $vgpr14_vgpr15
	s_mov_b32 s17, 0
.LBB1_130:                              ;   in Loop: Header=BB1_117 Depth=1
	global_load_b64 v[14:15], v11, s[12:13]
	s_add_co_i32 s17, s16, -8
.LBB1_131:                              ;   in Loop: Header=BB1_117 Depth=1
	s_delay_alu instid0(SALU_CYCLE_1)
	s_cmp_gt_u32 s17, 7
	s_cbranch_scc1 .LBB1_136
; %bb.132:                              ;   in Loop: Header=BB1_117 Depth=1
	v_mov_b64_e32 v[16:17], 0
	s_cmp_eq_u32 s17, 0
	s_cbranch_scc1 .LBB1_135
; %bb.133:                              ;   in Loop: Header=BB1_117 Depth=1
	s_wait_xcnt 0x0
	s_mov_b64 s[12:13], 0
	s_mov_b64 s[14:15], 0
.LBB1_134:                              ;   Parent Loop BB1_117 Depth=1
                                        ; =>  This Inner Loop Header: Depth=2
	s_wait_xcnt 0x0
	s_add_nc_u64 s[18:19], s[0:1], s[14:15]
	s_add_nc_u64 s[14:15], s[14:15], 1
	global_load_u8 v3, v11, s[18:19]
	s_cmp_lg_u32 s17, s14
	s_wait_loadcnt 0x0
	v_and_b32_e32 v10, 0xffff, v3
	s_delay_alu instid0(VALU_DEP_1) | instskip(SKIP_1) | instid1(VALU_DEP_1)
	v_lshlrev_b64_e32 v[18:19], s12, v[10:11]
	s_add_nc_u64 s[12:13], s[12:13], 8
	v_or_b32_e32 v16, v18, v16
	s_delay_alu instid0(VALU_DEP_2)
	v_or_b32_e32 v17, v19, v17
	s_cbranch_scc1 .LBB1_134
.LBB1_135:                              ;   in Loop: Header=BB1_117 Depth=1
	s_wait_xcnt 0x0
	s_mov_b64 s[12:13], s[0:1]
	s_mov_b32 s16, 0
	s_cbranch_execz .LBB1_137
	s_branch .LBB1_138
.LBB1_136:                              ;   in Loop: Header=BB1_117 Depth=1
	s_wait_xcnt 0x0
	s_add_nc_u64 s[12:13], s[0:1], 8
	s_mov_b32 s16, 0
.LBB1_137:                              ;   in Loop: Header=BB1_117 Depth=1
	global_load_b64 v[16:17], v11, s[0:1]
	s_add_co_i32 s16, s17, -8
.LBB1_138:                              ;   in Loop: Header=BB1_117 Depth=1
	s_delay_alu instid0(SALU_CYCLE_1)
	s_cmp_gt_u32 s16, 7
	s_cbranch_scc1 .LBB1_143
; %bb.139:                              ;   in Loop: Header=BB1_117 Depth=1
	v_mov_b64_e32 v[18:19], 0
	s_cmp_eq_u32 s16, 0
	s_cbranch_scc1 .LBB1_142
; %bb.140:                              ;   in Loop: Header=BB1_117 Depth=1
	s_wait_xcnt 0x0
	s_mov_b64 s[0:1], 0
	s_mov_b64 s[14:15], 0
.LBB1_141:                              ;   Parent Loop BB1_117 Depth=1
                                        ; =>  This Inner Loop Header: Depth=2
	s_wait_xcnt 0x0
	s_add_nc_u64 s[18:19], s[12:13], s[14:15]
	s_add_nc_u64 s[14:15], s[14:15], 1
	global_load_u8 v3, v11, s[18:19]
	s_cmp_lg_u32 s16, s14
	s_wait_loadcnt 0x0
	v_and_b32_e32 v10, 0xffff, v3
	s_delay_alu instid0(VALU_DEP_1) | instskip(SKIP_1) | instid1(VALU_DEP_1)
	v_lshlrev_b64_e32 v[20:21], s0, v[10:11]
	s_add_nc_u64 s[0:1], s[0:1], 8
	v_or_b32_e32 v18, v20, v18
	s_delay_alu instid0(VALU_DEP_2)
	v_or_b32_e32 v19, v21, v19
	s_cbranch_scc1 .LBB1_141
.LBB1_142:                              ;   in Loop: Header=BB1_117 Depth=1
	s_wait_xcnt 0x0
	s_mov_b64 s[0:1], s[12:13]
	s_mov_b32 s17, 0
	s_cbranch_execz .LBB1_144
	s_branch .LBB1_145
.LBB1_143:                              ;   in Loop: Header=BB1_117 Depth=1
	s_wait_xcnt 0x0
	s_add_nc_u64 s[0:1], s[12:13], 8
                                        ; implicit-def: $vgpr18_vgpr19
	s_mov_b32 s17, 0
.LBB1_144:                              ;   in Loop: Header=BB1_117 Depth=1
	global_load_b64 v[18:19], v11, s[12:13]
	s_add_co_i32 s17, s16, -8
.LBB1_145:                              ;   in Loop: Header=BB1_117 Depth=1
	s_delay_alu instid0(SALU_CYCLE_1)
	s_cmp_gt_u32 s17, 7
	s_cbranch_scc1 .LBB1_150
; %bb.146:                              ;   in Loop: Header=BB1_117 Depth=1
	v_mov_b64_e32 v[20:21], 0
	s_cmp_eq_u32 s17, 0
	s_cbranch_scc1 .LBB1_149
; %bb.147:                              ;   in Loop: Header=BB1_117 Depth=1
	s_wait_xcnt 0x0
	s_mov_b64 s[12:13], 0
	s_mov_b64 s[14:15], 0
.LBB1_148:                              ;   Parent Loop BB1_117 Depth=1
                                        ; =>  This Inner Loop Header: Depth=2
	s_wait_xcnt 0x0
	s_add_nc_u64 s[18:19], s[0:1], s[14:15]
	s_add_nc_u64 s[14:15], s[14:15], 1
	global_load_u8 v3, v11, s[18:19]
	s_cmp_lg_u32 s17, s14
	s_wait_loadcnt 0x0
	v_and_b32_e32 v10, 0xffff, v3
	s_delay_alu instid0(VALU_DEP_1) | instskip(SKIP_1) | instid1(VALU_DEP_1)
	v_lshlrev_b64_e32 v[22:23], s12, v[10:11]
	s_add_nc_u64 s[12:13], s[12:13], 8
	v_or_b32_e32 v20, v22, v20
	s_delay_alu instid0(VALU_DEP_2)
	v_or_b32_e32 v21, v23, v21
	s_cbranch_scc1 .LBB1_148
.LBB1_149:                              ;   in Loop: Header=BB1_117 Depth=1
	s_wait_xcnt 0x0
	s_mov_b64 s[12:13], s[0:1]
	s_mov_b32 s16, 0
	s_cbranch_execz .LBB1_151
	s_branch .LBB1_152
.LBB1_150:                              ;   in Loop: Header=BB1_117 Depth=1
	s_wait_xcnt 0x0
	s_add_nc_u64 s[12:13], s[0:1], 8
	s_mov_b32 s16, 0
.LBB1_151:                              ;   in Loop: Header=BB1_117 Depth=1
	global_load_b64 v[20:21], v11, s[0:1]
	s_add_co_i32 s16, s17, -8
.LBB1_152:                              ;   in Loop: Header=BB1_117 Depth=1
	s_delay_alu instid0(SALU_CYCLE_1)
	s_cmp_gt_u32 s16, 7
	s_cbranch_scc1 .LBB1_157
; %bb.153:                              ;   in Loop: Header=BB1_117 Depth=1
	v_mov_b64_e32 v[22:23], 0
	s_cmp_eq_u32 s16, 0
	s_cbranch_scc1 .LBB1_156
; %bb.154:                              ;   in Loop: Header=BB1_117 Depth=1
	s_wait_xcnt 0x0
	s_mov_b64 s[0:1], 0
	s_mov_b64 s[14:15], 0
.LBB1_155:                              ;   Parent Loop BB1_117 Depth=1
                                        ; =>  This Inner Loop Header: Depth=2
	s_wait_xcnt 0x0
	s_add_nc_u64 s[18:19], s[12:13], s[14:15]
	s_add_nc_u64 s[14:15], s[14:15], 1
	global_load_u8 v3, v11, s[18:19]
	s_cmp_lg_u32 s16, s14
	s_wait_loadcnt 0x0
	v_and_b32_e32 v10, 0xffff, v3
	s_delay_alu instid0(VALU_DEP_1) | instskip(SKIP_1) | instid1(VALU_DEP_1)
	v_lshlrev_b64_e32 v[24:25], s0, v[10:11]
	s_add_nc_u64 s[0:1], s[0:1], 8
	v_or_b32_e32 v22, v24, v22
	s_delay_alu instid0(VALU_DEP_2)
	v_or_b32_e32 v23, v25, v23
	s_cbranch_scc1 .LBB1_155
.LBB1_156:                              ;   in Loop: Header=BB1_117 Depth=1
	s_wait_xcnt 0x0
	s_mov_b64 s[0:1], s[12:13]
	s_mov_b32 s17, 0
	s_cbranch_execz .LBB1_158
	s_branch .LBB1_159
.LBB1_157:                              ;   in Loop: Header=BB1_117 Depth=1
	s_wait_xcnt 0x0
	s_add_nc_u64 s[0:1], s[12:13], 8
                                        ; implicit-def: $vgpr22_vgpr23
	s_mov_b32 s17, 0
.LBB1_158:                              ;   in Loop: Header=BB1_117 Depth=1
	global_load_b64 v[22:23], v11, s[12:13]
	s_add_co_i32 s17, s16, -8
.LBB1_159:                              ;   in Loop: Header=BB1_117 Depth=1
	s_delay_alu instid0(SALU_CYCLE_1)
	s_cmp_gt_u32 s17, 7
	s_cbranch_scc1 .LBB1_164
; %bb.160:                              ;   in Loop: Header=BB1_117 Depth=1
	v_mov_b64_e32 v[24:25], 0
	s_cmp_eq_u32 s17, 0
	s_cbranch_scc1 .LBB1_163
; %bb.161:                              ;   in Loop: Header=BB1_117 Depth=1
	s_wait_xcnt 0x0
	s_mov_b64 s[12:13], 0
	s_mov_b64 s[14:15], s[0:1]
.LBB1_162:                              ;   Parent Loop BB1_117 Depth=1
                                        ; =>  This Inner Loop Header: Depth=2
	global_load_u8 v3, v11, s[14:15]
	s_add_co_i32 s17, s17, -1
	s_wait_xcnt 0x0
	s_add_nc_u64 s[14:15], s[14:15], 1
	s_cmp_lg_u32 s17, 0
	s_wait_loadcnt 0x0
	v_and_b32_e32 v10, 0xffff, v3
	s_delay_alu instid0(VALU_DEP_1) | instskip(SKIP_1) | instid1(VALU_DEP_1)
	v_lshlrev_b64_e32 v[26:27], s12, v[10:11]
	s_add_nc_u64 s[12:13], s[12:13], 8
	v_or_b32_e32 v24, v26, v24
	s_delay_alu instid0(VALU_DEP_2)
	v_or_b32_e32 v25, v27, v25
	s_cbranch_scc1 .LBB1_162
.LBB1_163:                              ;   in Loop: Header=BB1_117 Depth=1
	s_wait_xcnt 0x0
	s_cbranch_execz .LBB1_165
	s_branch .LBB1_166
.LBB1_164:                              ;   in Loop: Header=BB1_117 Depth=1
	s_wait_xcnt 0x0
.LBB1_165:                              ;   in Loop: Header=BB1_117 Depth=1
	global_load_b64 v[24:25], v11, s[0:1]
.LBB1_166:                              ;   in Loop: Header=BB1_117 Depth=1
	s_wait_xcnt 0x0
	v_readfirstlane_b32 s0, v48
	v_mov_b64_e32 v[32:33], 0
	s_delay_alu instid0(VALU_DEP_2)
	v_cmp_eq_u32_e64 s0, s0, v48
	s_and_saveexec_b32 s1, s0
	s_cbranch_execz .LBB1_172
; %bb.167:                              ;   in Loop: Header=BB1_117 Depth=1
	global_load_b64 v[28:29], v11, s[2:3] offset:24 scope:SCOPE_SYS
	s_wait_loadcnt 0x0
	global_inv scope:SCOPE_SYS
	s_clause 0x1
	global_load_b64 v[26:27], v11, s[2:3] offset:40
	global_load_b64 v[32:33], v11, s[2:3]
	s_mov_b32 s12, exec_lo
	s_wait_loadcnt 0x1
	v_and_b32_e32 v26, v26, v28
	v_and_b32_e32 v27, v27, v29
	s_delay_alu instid0(VALU_DEP_1) | instskip(SKIP_1) | instid1(VALU_DEP_1)
	v_mul_u64_e32 v[26:27], 24, v[26:27]
	s_wait_loadcnt 0x0
	v_add_nc_u64_e32 v[26:27], v[32:33], v[26:27]
	global_load_b64 v[26:27], v[26:27], off scope:SCOPE_SYS
	s_wait_xcnt 0x0
	s_wait_loadcnt 0x0
	global_atomic_cmpswap_b64 v[32:33], v11, v[26:29], s[2:3] offset:24 th:TH_ATOMIC_RETURN scope:SCOPE_SYS
	s_wait_loadcnt 0x0
	global_inv scope:SCOPE_SYS
	s_wait_xcnt 0x0
	v_cmpx_ne_u64_e64 v[32:33], v[28:29]
	s_cbranch_execz .LBB1_171
; %bb.168:                              ;   in Loop: Header=BB1_117 Depth=1
	s_mov_b32 s13, 0
.LBB1_169:                              ;   Parent Loop BB1_117 Depth=1
                                        ; =>  This Inner Loop Header: Depth=2
	s_sleep 1
	s_clause 0x1
	global_load_b64 v[26:27], v11, s[2:3] offset:40
	global_load_b64 v[34:35], v11, s[2:3]
	v_mov_b64_e32 v[28:29], v[32:33]
	s_wait_loadcnt 0x1
	s_delay_alu instid0(VALU_DEP_1) | instskip(SKIP_1) | instid1(VALU_DEP_1)
	v_and_b32_e32 v3, v26, v28
	s_wait_loadcnt 0x0
	v_mad_nc_u64_u32 v[32:33], v3, 24, v[34:35]
	s_delay_alu instid0(VALU_DEP_3) | instskip(NEXT) | instid1(VALU_DEP_1)
	v_and_b32_e32 v3, v27, v29
	v_mad_u32 v33, v3, 24, v33
	global_load_b64 v[26:27], v[32:33], off scope:SCOPE_SYS
	s_wait_xcnt 0x0
	s_wait_loadcnt 0x0
	global_atomic_cmpswap_b64 v[32:33], v11, v[26:29], s[2:3] offset:24 th:TH_ATOMIC_RETURN scope:SCOPE_SYS
	s_wait_loadcnt 0x0
	global_inv scope:SCOPE_SYS
	v_cmp_eq_u64_e32 vcc_lo, v[32:33], v[28:29]
	s_or_b32 s13, vcc_lo, s13
	s_wait_xcnt 0x0
	s_and_not1_b32 exec_lo, exec_lo, s13
	s_cbranch_execnz .LBB1_169
; %bb.170:                              ;   in Loop: Header=BB1_117 Depth=1
	s_or_b32 exec_lo, exec_lo, s13
.LBB1_171:                              ;   in Loop: Header=BB1_117 Depth=1
	s_delay_alu instid0(SALU_CYCLE_1)
	s_or_b32 exec_lo, exec_lo, s12
.LBB1_172:                              ;   in Loop: Header=BB1_117 Depth=1
	s_delay_alu instid0(SALU_CYCLE_1)
	s_or_b32 exec_lo, exec_lo, s1
	s_clause 0x1
	global_load_b64 v[34:35], v11, s[2:3] offset:40
	global_load_b128 v[26:29], v11, s[2:3]
	v_readfirstlane_b32 s12, v32
	v_readfirstlane_b32 s13, v33
	s_mov_b32 s1, exec_lo
	s_wait_loadcnt 0x1
	v_and_b32_e32 v34, s12, v34
	v_and_b32_e32 v35, s13, v35
	s_delay_alu instid0(VALU_DEP_1) | instskip(SKIP_1) | instid1(VALU_DEP_1)
	v_mul_u64_e32 v[32:33], 24, v[34:35]
	s_wait_loadcnt 0x0
	v_add_nc_u64_e32 v[32:33], v[26:27], v[32:33]
	s_wait_xcnt 0x0
	s_and_saveexec_b32 s14, s0
	s_cbranch_execz .LBB1_174
; %bb.173:                              ;   in Loop: Header=BB1_117 Depth=1
	v_mov_b32_e32 v10, s1
	global_store_b128 v[32:33], v[10:13], off offset:8
.LBB1_174:                              ;   in Loop: Header=BB1_117 Depth=1
	s_wait_xcnt 0x0
	s_or_b32 exec_lo, exec_lo, s14
	v_cmp_lt_u64_e64 vcc_lo, s[6:7], 57
	v_lshlrev_b64_e32 v[34:35], 12, v[34:35]
	v_and_b32_e32 v6, 0xffffff1f, v6
	s_lshl_b32 s1, s10, 2
	s_delay_alu instid0(SALU_CYCLE_1) | instskip(SKIP_1) | instid1(VALU_DEP_3)
	s_add_co_i32 s1, s1, 28
	v_cndmask_b32_e32 v3, 0, v2, vcc_lo
	v_add_nc_u64_e32 v[28:29], v[28:29], v[34:35]
	s_delay_alu instid0(VALU_DEP_2) | instskip(NEXT) | instid1(VALU_DEP_2)
	v_or_b32_e32 v3, v6, v3
	v_readfirstlane_b32 s14, v28
	s_delay_alu instid0(VALU_DEP_3) | instskip(NEXT) | instid1(VALU_DEP_3)
	v_readfirstlane_b32 s15, v29
	v_and_or_b32 v6, 0x1e0, s1, v3
	s_clause 0x3
	global_store_b128 v30, v[6:9], s[14:15]
	global_store_b128 v30, v[14:17], s[14:15] offset:16
	global_store_b128 v30, v[18:21], s[14:15] offset:32
	;; [unrolled: 1-line block ×3, first 2 shown]
	s_wait_xcnt 0x0
	s_and_saveexec_b32 s1, s0
	s_cbranch_execz .LBB1_182
; %bb.175:                              ;   in Loop: Header=BB1_117 Depth=1
	s_clause 0x1
	global_load_b64 v[18:19], v11, s[2:3] offset:32 scope:SCOPE_SYS
	global_load_b64 v[6:7], v11, s[2:3] offset:40
	s_mov_b32 s14, exec_lo
	v_dual_mov_b32 v16, s12 :: v_dual_mov_b32 v17, s13
	s_wait_loadcnt 0x0
	v_and_b32_e32 v7, s13, v7
	v_and_b32_e32 v6, s12, v6
	s_delay_alu instid0(VALU_DEP_1) | instskip(NEXT) | instid1(VALU_DEP_1)
	v_mul_u64_e32 v[6:7], 24, v[6:7]
	v_add_nc_u64_e32 v[14:15], v[26:27], v[6:7]
	global_store_b64 v[14:15], v[18:19], off
	global_wb scope:SCOPE_SYS
	s_wait_storecnt 0x0
	s_wait_xcnt 0x0
	global_atomic_cmpswap_b64 v[8:9], v11, v[16:19], s[2:3] offset:32 th:TH_ATOMIC_RETURN scope:SCOPE_SYS
	s_wait_loadcnt 0x0
	v_cmpx_ne_u64_e64 v[8:9], v[18:19]
	s_cbranch_execz .LBB1_178
; %bb.176:                              ;   in Loop: Header=BB1_117 Depth=1
	s_mov_b32 s15, 0
.LBB1_177:                              ;   Parent Loop BB1_117 Depth=1
                                        ; =>  This Inner Loop Header: Depth=2
	v_dual_mov_b32 v6, s12 :: v_dual_mov_b32 v7, s13
	s_sleep 1
	global_store_b64 v[14:15], v[8:9], off
	global_wb scope:SCOPE_SYS
	s_wait_storecnt 0x0
	s_wait_xcnt 0x0
	global_atomic_cmpswap_b64 v[6:7], v11, v[6:9], s[2:3] offset:32 th:TH_ATOMIC_RETURN scope:SCOPE_SYS
	s_wait_loadcnt 0x0
	v_cmp_eq_u64_e32 vcc_lo, v[6:7], v[8:9]
	v_mov_b64_e32 v[8:9], v[6:7]
	s_or_b32 s15, vcc_lo, s15
	s_delay_alu instid0(SALU_CYCLE_1)
	s_and_not1_b32 exec_lo, exec_lo, s15
	s_cbranch_execnz .LBB1_177
.LBB1_178:                              ;   in Loop: Header=BB1_117 Depth=1
	s_or_b32 exec_lo, exec_lo, s14
	global_load_b64 v[6:7], v11, s[2:3] offset:16
	s_mov_b32 s15, exec_lo
	s_mov_b32 s14, exec_lo
	v_mbcnt_lo_u32_b32 v3, s15, 0
	s_wait_xcnt 0x0
	s_delay_alu instid0(VALU_DEP_1)
	v_cmpx_eq_u32_e32 0, v3
	s_cbranch_execz .LBB1_180
; %bb.179:                              ;   in Loop: Header=BB1_117 Depth=1
	s_bcnt1_i32_b32 s15, s15
	s_delay_alu instid0(SALU_CYCLE_1)
	v_mov_b32_e32 v10, s15
	global_wb scope:SCOPE_SYS
	s_wait_loadcnt 0x0
	s_wait_storecnt 0x0
	global_atomic_add_u64 v[6:7], v[10:11], off offset:8 scope:SCOPE_SYS
.LBB1_180:                              ;   in Loop: Header=BB1_117 Depth=1
	s_wait_xcnt 0x0
	s_or_b32 exec_lo, exec_lo, s14
	s_wait_loadcnt 0x0
	global_load_b64 v[8:9], v[6:7], off offset:16
	s_wait_loadcnt 0x0
	v_cmp_eq_u64_e32 vcc_lo, 0, v[8:9]
	s_cbranch_vccnz .LBB1_182
; %bb.181:                              ;   in Loop: Header=BB1_117 Depth=1
	global_load_b32 v10, v[6:7], off offset:24
	s_wait_loadcnt 0x0
	v_readfirstlane_b32 s14, v10
	global_wb scope:SCOPE_SYS
	s_wait_storecnt 0x0
	s_wait_xcnt 0x0
	global_store_b64 v[8:9], v[10:11], off scope:SCOPE_SYS
	s_and_b32 m0, s14, 0xffffff
	s_sendmsg sendmsg(MSG_INTERRUPT)
.LBB1_182:                              ;   in Loop: Header=BB1_117 Depth=1
	s_wait_xcnt 0x0
	s_or_b32 exec_lo, exec_lo, s1
	v_mov_b32_e32 v31, v11
	s_delay_alu instid0(VALU_DEP_1)
	v_add_nc_u64_e32 v[6:7], v[28:29], v[30:31]
	s_branch .LBB1_186
.LBB1_183:                              ;   in Loop: Header=BB1_186 Depth=2
	s_wait_xcnt 0x0
	s_or_b32 exec_lo, exec_lo, s1
	s_delay_alu instid0(VALU_DEP_1)
	v_readfirstlane_b32 s1, v3
	s_cmp_eq_u32 s1, 0
	s_cbranch_scc1 .LBB1_185
; %bb.184:                              ;   in Loop: Header=BB1_186 Depth=2
	s_sleep 1
	s_cbranch_execnz .LBB1_186
	s_branch .LBB1_188
.LBB1_185:                              ;   in Loop: Header=BB1_117 Depth=1
	s_branch .LBB1_188
.LBB1_186:                              ;   Parent Loop BB1_117 Depth=1
                                        ; =>  This Inner Loop Header: Depth=2
	v_mov_b32_e32 v3, 1
	s_and_saveexec_b32 s1, s0
	s_cbranch_execz .LBB1_183
; %bb.187:                              ;   in Loop: Header=BB1_186 Depth=2
	global_load_b32 v3, v[32:33], off offset:20 scope:SCOPE_SYS
	s_wait_loadcnt 0x0
	global_inv scope:SCOPE_SYS
	v_and_b32_e32 v3, 1, v3
	s_branch .LBB1_183
.LBB1_188:                              ;   in Loop: Header=BB1_117 Depth=1
	global_load_b64 v[6:7], v[6:7], off
	s_wait_xcnt 0x0
	s_and_saveexec_b32 s14, s0
	s_cbranch_execz .LBB1_116
; %bb.189:                              ;   in Loop: Header=BB1_117 Depth=1
	s_clause 0x2
	global_load_b64 v[8:9], v11, s[2:3] offset:40
	global_load_b64 v[18:19], v11, s[2:3] offset:24 scope:SCOPE_SYS
	global_load_b64 v[14:15], v11, s[2:3]
	s_wait_loadcnt 0x2
	v_readfirstlane_b32 s16, v8
	v_readfirstlane_b32 s17, v9
	s_add_nc_u64 s[0:1], s[16:17], 1
	s_delay_alu instid0(SALU_CYCLE_1) | instskip(NEXT) | instid1(SALU_CYCLE_1)
	s_add_nc_u64 s[12:13], s[0:1], s[12:13]
	s_cmp_eq_u64 s[12:13], 0
	s_cselect_b32 s1, s1, s13
	s_cselect_b32 s0, s0, s12
	s_delay_alu instid0(SALU_CYCLE_1) | instskip(SKIP_1) | instid1(SALU_CYCLE_1)
	v_dual_mov_b32 v17, s1 :: v_dual_mov_b32 v16, s0
	s_and_b64 s[12:13], s[0:1], s[16:17]
	s_mul_u64 s[12:13], s[12:13], 24
	s_wait_loadcnt 0x0
	v_add_nc_u64_e32 v[8:9], s[12:13], v[14:15]
	global_store_b64 v[8:9], v[18:19], off
	global_wb scope:SCOPE_SYS
	s_wait_storecnt 0x0
	s_wait_xcnt 0x0
	global_atomic_cmpswap_b64 v[16:17], v11, v[16:19], s[2:3] offset:24 th:TH_ATOMIC_RETURN scope:SCOPE_SYS
	s_wait_loadcnt 0x0
	v_cmp_ne_u64_e32 vcc_lo, v[16:17], v[18:19]
	s_and_b32 exec_lo, exec_lo, vcc_lo
	s_cbranch_execz .LBB1_116
; %bb.190:                              ;   in Loop: Header=BB1_117 Depth=1
	s_mov_b32 s12, 0
.LBB1_191:                              ;   Parent Loop BB1_117 Depth=1
                                        ; =>  This Inner Loop Header: Depth=2
	v_dual_mov_b32 v14, s0 :: v_dual_mov_b32 v15, s1
	s_sleep 1
	global_store_b64 v[8:9], v[16:17], off
	global_wb scope:SCOPE_SYS
	s_wait_storecnt 0x0
	s_wait_xcnt 0x0
	global_atomic_cmpswap_b64 v[14:15], v11, v[14:17], s[2:3] offset:24 th:TH_ATOMIC_RETURN scope:SCOPE_SYS
	s_wait_loadcnt 0x0
	v_cmp_eq_u64_e32 vcc_lo, v[14:15], v[16:17]
	v_mov_b64_e32 v[16:17], v[14:15]
	s_or_b32 s12, vcc_lo, s12
	s_delay_alu instid0(SALU_CYCLE_1)
	s_and_not1_b32 exec_lo, exec_lo, s12
	s_cbranch_execnz .LBB1_191
	s_branch .LBB1_116
.LBB1_192:
	s_or_b32 exec_lo, exec_lo, s6
	s_branch .LBB1_114
.LBB1_193:
	v_readfirstlane_b32 s0, v48
	v_mov_b64_e32 v[8:9], 0
	s_delay_alu instid0(VALU_DEP_2)
	v_cmp_eq_u32_e64 s0, s0, v48
	s_and_saveexec_b32 s1, s0
	s_cbranch_execz .LBB1_199
; %bb.194:
	s_wait_loadcnt 0x0
	v_mov_b32_e32 v0, 0
	s_mov_b32 s4, exec_lo
	global_load_b64 v[10:11], v0, s[2:3] offset:24 scope:SCOPE_SYS
	s_wait_loadcnt 0x0
	global_inv scope:SCOPE_SYS
	s_clause 0x1
	global_load_b64 v[2:3], v0, s[2:3] offset:40
	global_load_b64 v[8:9], v0, s[2:3]
	s_wait_loadcnt 0x1
	v_and_b32_e32 v2, v2, v10
	v_and_b32_e32 v3, v3, v11
	s_delay_alu instid0(VALU_DEP_1) | instskip(SKIP_1) | instid1(VALU_DEP_1)
	v_mul_u64_e32 v[2:3], 24, v[2:3]
	s_wait_loadcnt 0x0
	v_add_nc_u64_e32 v[2:3], v[8:9], v[2:3]
	global_load_b64 v[8:9], v[2:3], off scope:SCOPE_SYS
	s_wait_xcnt 0x0
	s_wait_loadcnt 0x0
	global_atomic_cmpswap_b64 v[8:9], v0, v[8:11], s[2:3] offset:24 th:TH_ATOMIC_RETURN scope:SCOPE_SYS
	s_wait_loadcnt 0x0
	global_inv scope:SCOPE_SYS
	s_wait_xcnt 0x0
	v_cmpx_ne_u64_e64 v[8:9], v[10:11]
	s_cbranch_execz .LBB1_198
; %bb.195:
	s_mov_b32 s5, 0
.LBB1_196:                              ; =>This Inner Loop Header: Depth=1
	s_sleep 1
	s_clause 0x1
	global_load_b64 v[2:3], v0, s[2:3] offset:40
	global_load_b64 v[12:13], v0, s[2:3]
	v_mov_b64_e32 v[10:11], v[8:9]
	s_wait_loadcnt 0x1
	s_delay_alu instid0(VALU_DEP_1) | instskip(SKIP_1) | instid1(VALU_DEP_1)
	v_and_b32_e32 v1, v2, v10
	s_wait_loadcnt 0x0
	v_mad_nc_u64_u32 v[8:9], v1, 24, v[12:13]
	s_delay_alu instid0(VALU_DEP_3) | instskip(NEXT) | instid1(VALU_DEP_1)
	v_and_b32_e32 v1, v3, v11
	v_mad_u32 v9, v1, 24, v9
	global_load_b64 v[8:9], v[8:9], off scope:SCOPE_SYS
	s_wait_xcnt 0x0
	s_wait_loadcnt 0x0
	global_atomic_cmpswap_b64 v[8:9], v0, v[8:11], s[2:3] offset:24 th:TH_ATOMIC_RETURN scope:SCOPE_SYS
	s_wait_loadcnt 0x0
	global_inv scope:SCOPE_SYS
	v_cmp_eq_u64_e32 vcc_lo, v[8:9], v[10:11]
	s_or_b32 s5, vcc_lo, s5
	s_wait_xcnt 0x0
	s_and_not1_b32 exec_lo, exec_lo, s5
	s_cbranch_execnz .LBB1_196
; %bb.197:
	s_or_b32 exec_lo, exec_lo, s5
.LBB1_198:
	s_delay_alu instid0(SALU_CYCLE_1)
	s_or_b32 exec_lo, exec_lo, s4
.LBB1_199:
	s_delay_alu instid0(SALU_CYCLE_1)
	s_or_b32 exec_lo, exec_lo, s1
	v_readfirstlane_b32 s4, v8
	v_mov_b32_e32 v31, 0
	v_readfirstlane_b32 s5, v9
	s_mov_b32 s1, exec_lo
	global_load_b64 v[10:11], v31, s[2:3] offset:40
	s_wait_loadcnt 0x1
	global_load_b128 v[0:3], v31, s[2:3]
	s_wait_loadcnt 0x1
	v_and_b32_e32 v8, s4, v10
	v_and_b32_e32 v9, s5, v11
	s_delay_alu instid0(VALU_DEP_1) | instskip(SKIP_1) | instid1(VALU_DEP_1)
	v_mul_u64_e32 v[10:11], 24, v[8:9]
	s_wait_loadcnt 0x0
	v_add_nc_u64_e32 v[10:11], v[0:1], v[10:11]
	s_wait_xcnt 0x0
	s_and_saveexec_b32 s6, s0
	s_cbranch_execz .LBB1_201
; %bb.200:
	v_mov_b64_e32 v[14:15], 0x100000002
	v_dual_mov_b32 v12, s1 :: v_dual_mov_b32 v13, v31
	global_store_b128 v[10:11], v[12:15], off offset:8
.LBB1_201:
	s_wait_xcnt 0x0
	s_or_b32 exec_lo, exec_lo, s6
	v_lshlrev_b64_e32 v[8:9], 12, v[8:9]
	s_mov_b32 s12, 0
	v_and_or_b32 v6, 0xffffff1f, v6, 32
	s_mov_b32 s14, s12
	s_mov_b32 s15, s12
	;; [unrolled: 1-line block ×3, first 2 shown]
	v_mov_b64_e32 v[16:17], s[14:15]
	v_add_nc_u64_e32 v[12:13], v[2:3], v[8:9]
	v_mov_b64_e32 v[14:15], s[12:13]
	v_dual_mov_b32 v8, v31 :: v_dual_mov_b32 v9, v31
	s_delay_alu instid0(VALU_DEP_3) | instskip(NEXT) | instid1(VALU_DEP_4)
	v_readfirstlane_b32 s6, v12
	v_readfirstlane_b32 s7, v13
	s_clause 0x3
	global_store_b128 v30, v[6:9], s[6:7]
	global_store_b128 v30, v[14:17], s[6:7] offset:16
	global_store_b128 v30, v[14:17], s[6:7] offset:32
	;; [unrolled: 1-line block ×3, first 2 shown]
	s_wait_xcnt 0x0
	s_and_saveexec_b32 s1, s0
	s_cbranch_execz .LBB1_209
; %bb.202:
	v_dual_mov_b32 v8, 0 :: v_dual_mov_b32 v15, s5
	s_mov_b32 s6, exec_lo
	s_clause 0x1
	global_load_b64 v[16:17], v8, s[2:3] offset:32 scope:SCOPE_SYS
	global_load_b64 v[2:3], v8, s[2:3] offset:40
	s_wait_loadcnt 0x0
	v_dual_mov_b32 v14, s4 :: v_dual_bitop2_b32 v3, s5, v3 bitop3:0x40
	v_and_b32_e32 v2, s4, v2
	s_delay_alu instid0(VALU_DEP_1) | instskip(NEXT) | instid1(VALU_DEP_1)
	v_mul_u64_e32 v[2:3], 24, v[2:3]
	v_add_nc_u64_e32 v[6:7], v[0:1], v[2:3]
	global_store_b64 v[6:7], v[16:17], off
	global_wb scope:SCOPE_SYS
	s_wait_storecnt 0x0
	s_wait_xcnt 0x0
	global_atomic_cmpswap_b64 v[2:3], v8, v[14:17], s[2:3] offset:32 th:TH_ATOMIC_RETURN scope:SCOPE_SYS
	s_wait_loadcnt 0x0
	v_cmpx_ne_u64_e64 v[2:3], v[16:17]
	s_cbranch_execz .LBB1_205
; %bb.203:
	s_mov_b32 s7, 0
.LBB1_204:                              ; =>This Inner Loop Header: Depth=1
	v_dual_mov_b32 v0, s4 :: v_dual_mov_b32 v1, s5
	s_sleep 1
	global_store_b64 v[6:7], v[2:3], off
	global_wb scope:SCOPE_SYS
	s_wait_storecnt 0x0
	s_wait_xcnt 0x0
	global_atomic_cmpswap_b64 v[0:1], v8, v[0:3], s[2:3] offset:32 th:TH_ATOMIC_RETURN scope:SCOPE_SYS
	s_wait_loadcnt 0x0
	v_cmp_eq_u64_e32 vcc_lo, v[0:1], v[2:3]
	v_mov_b64_e32 v[2:3], v[0:1]
	s_or_b32 s7, vcc_lo, s7
	s_delay_alu instid0(SALU_CYCLE_1)
	s_and_not1_b32 exec_lo, exec_lo, s7
	s_cbranch_execnz .LBB1_204
.LBB1_205:
	s_or_b32 exec_lo, exec_lo, s6
	v_mov_b32_e32 v3, 0
	s_mov_b32 s7, exec_lo
	s_mov_b32 s6, exec_lo
	v_mbcnt_lo_u32_b32 v2, s7, 0
	global_load_b64 v[0:1], v3, s[2:3] offset:16
	s_wait_xcnt 0x0
	v_cmpx_eq_u32_e32 0, v2
	s_cbranch_execz .LBB1_207
; %bb.206:
	s_bcnt1_i32_b32 s7, s7
	s_delay_alu instid0(SALU_CYCLE_1)
	v_mov_b32_e32 v2, s7
	global_wb scope:SCOPE_SYS
	s_wait_loadcnt 0x0
	s_wait_storecnt 0x0
	global_atomic_add_u64 v[0:1], v[2:3], off offset:8 scope:SCOPE_SYS
.LBB1_207:
	s_wait_xcnt 0x0
	s_or_b32 exec_lo, exec_lo, s6
	s_wait_loadcnt 0x0
	global_load_b64 v[2:3], v[0:1], off offset:16
	s_wait_loadcnt 0x0
	v_cmp_eq_u64_e32 vcc_lo, 0, v[2:3]
	s_cbranch_vccnz .LBB1_209
; %bb.208:
	global_load_b32 v0, v[0:1], off offset:24
	s_wait_xcnt 0x0
	v_mov_b32_e32 v1, 0
	s_wait_loadcnt 0x0
	v_readfirstlane_b32 s6, v0
	global_wb scope:SCOPE_SYS
	s_wait_storecnt 0x0
	global_store_b64 v[2:3], v[0:1], off scope:SCOPE_SYS
	s_and_b32 m0, s6, 0xffffff
	s_sendmsg sendmsg(MSG_INTERRUPT)
.LBB1_209:
	s_wait_xcnt 0x0
	s_or_b32 exec_lo, exec_lo, s1
	v_add_nc_u64_e32 v[0:1], v[12:13], v[30:31]
	s_branch .LBB1_213
.LBB1_210:                              ;   in Loop: Header=BB1_213 Depth=1
	s_wait_xcnt 0x0
	s_or_b32 exec_lo, exec_lo, s1
	s_delay_alu instid0(VALU_DEP_1)
	v_readfirstlane_b32 s1, v2
	s_cmp_eq_u32 s1, 0
	s_cbranch_scc1 .LBB1_212
; %bb.211:                              ;   in Loop: Header=BB1_213 Depth=1
	s_sleep 1
	s_cbranch_execnz .LBB1_213
	s_branch .LBB1_216
.LBB1_212:
	s_branch .LBB1_216
.LBB1_213:                              ; =>This Inner Loop Header: Depth=1
	v_mov_b32_e32 v2, 1
	s_and_saveexec_b32 s1, s0
	s_cbranch_execz .LBB1_210
; %bb.214:                              ;   in Loop: Header=BB1_213 Depth=1
	global_load_b32 v2, v[10:11], off offset:20 scope:SCOPE_SYS
	s_wait_loadcnt 0x0
	global_inv scope:SCOPE_SYS
	v_and_b32_e32 v2, 1, v2
	s_branch .LBB1_210
.LBB1_215:
	s_branch .LBB1_249
.LBB1_216:
	global_load_b64 v[0:1], v[0:1], off
	s_wait_xcnt 0x0
	s_and_saveexec_b32 s6, s0
	s_cbranch_execz .LBB1_220
; %bb.217:
	v_mov_b32_e32 v10, 0
	s_clause 0x2
	global_load_b64 v[2:3], v10, s[2:3] offset:40
	global_load_b64 v[14:15], v10, s[2:3] offset:24 scope:SCOPE_SYS
	global_load_b64 v[6:7], v10, s[2:3]
	s_wait_loadcnt 0x2
	v_readfirstlane_b32 s10, v2
	v_readfirstlane_b32 s11, v3
	s_add_nc_u64 s[0:1], s[10:11], 1
	s_delay_alu instid0(SALU_CYCLE_1) | instskip(NEXT) | instid1(SALU_CYCLE_1)
	s_add_nc_u64 s[4:5], s[0:1], s[4:5]
	s_cmp_eq_u64 s[4:5], 0
	s_cselect_b32 s1, s1, s5
	s_cselect_b32 s0, s0, s4
	v_mov_b32_e32 v13, s1
	s_and_b64 s[4:5], s[0:1], s[10:11]
	v_mov_b32_e32 v12, s0
	s_mul_u64 s[4:5], s[4:5], 24
	s_wait_loadcnt 0x0
	v_add_nc_u64_e32 v[2:3], s[4:5], v[6:7]
	global_store_b64 v[2:3], v[14:15], off
	global_wb scope:SCOPE_SYS
	s_wait_storecnt 0x0
	s_wait_xcnt 0x0
	global_atomic_cmpswap_b64 v[8:9], v10, v[12:15], s[2:3] offset:24 th:TH_ATOMIC_RETURN scope:SCOPE_SYS
	s_wait_loadcnt 0x0
	v_cmp_ne_u64_e32 vcc_lo, v[8:9], v[14:15]
	s_and_b32 exec_lo, exec_lo, vcc_lo
	s_cbranch_execz .LBB1_220
; %bb.218:
	s_mov_b32 s4, 0
.LBB1_219:                              ; =>This Inner Loop Header: Depth=1
	v_dual_mov_b32 v6, s0 :: v_dual_mov_b32 v7, s1
	s_sleep 1
	global_store_b64 v[2:3], v[8:9], off
	global_wb scope:SCOPE_SYS
	s_wait_storecnt 0x0
	s_wait_xcnt 0x0
	global_atomic_cmpswap_b64 v[6:7], v10, v[6:9], s[2:3] offset:24 th:TH_ATOMIC_RETURN scope:SCOPE_SYS
	s_wait_loadcnt 0x0
	v_cmp_eq_u64_e32 vcc_lo, v[6:7], v[8:9]
	v_mov_b64_e32 v[8:9], v[6:7]
	s_or_b32 s4, vcc_lo, s4
	s_delay_alu instid0(SALU_CYCLE_1)
	s_and_not1_b32 exec_lo, exec_lo, s4
	s_cbranch_execnz .LBB1_219
.LBB1_220:
	s_or_b32 exec_lo, exec_lo, s6
	s_get_pc_i64 s[4:5]
	s_add_nc_u64 s[4:5], s[4:5], .str.4@rel64+4
	s_delay_alu instid0(SALU_CYCLE_1)
	s_cmp_lg_u64 s[4:5], 0
	s_cbranch_scc1 .LBB1_115
.LBB1_221:
                                        ; implicit-def: $vgpr6_vgpr7
	s_cbranch_execz .LBB1_249
; %bb.222:
	v_readfirstlane_b32 s0, v48
	v_mov_b64_e32 v[2:3], 0
	s_delay_alu instid0(VALU_DEP_2)
	v_cmp_eq_u32_e64 s0, s0, v48
	s_and_saveexec_b32 s1, s0
	s_cbranch_execz .LBB1_228
; %bb.223:
	s_wait_loadcnt 0x0
	v_mov_b32_e32 v6, 0
	s_mov_b32 s4, exec_lo
	global_load_b64 v[10:11], v6, s[2:3] offset:24 scope:SCOPE_SYS
	s_wait_loadcnt 0x0
	global_inv scope:SCOPE_SYS
	s_clause 0x1
	global_load_b64 v[2:3], v6, s[2:3] offset:40
	global_load_b64 v[8:9], v6, s[2:3]
	s_wait_loadcnt 0x1
	v_and_b32_e32 v2, v2, v10
	v_and_b32_e32 v3, v3, v11
	s_delay_alu instid0(VALU_DEP_1) | instskip(SKIP_1) | instid1(VALU_DEP_1)
	v_mul_u64_e32 v[2:3], 24, v[2:3]
	s_wait_loadcnt 0x0
	v_add_nc_u64_e32 v[2:3], v[8:9], v[2:3]
	global_load_b64 v[8:9], v[2:3], off scope:SCOPE_SYS
	s_wait_xcnt 0x0
	s_wait_loadcnt 0x0
	global_atomic_cmpswap_b64 v[2:3], v6, v[8:11], s[2:3] offset:24 th:TH_ATOMIC_RETURN scope:SCOPE_SYS
	s_wait_loadcnt 0x0
	global_inv scope:SCOPE_SYS
	s_wait_xcnt 0x0
	v_cmpx_ne_u64_e64 v[2:3], v[10:11]
	s_cbranch_execz .LBB1_227
; %bb.224:
	s_mov_b32 s5, 0
.LBB1_225:                              ; =>This Inner Loop Header: Depth=1
	s_sleep 1
	s_clause 0x1
	global_load_b64 v[8:9], v6, s[2:3] offset:40
	global_load_b64 v[12:13], v6, s[2:3]
	v_mov_b64_e32 v[10:11], v[2:3]
	s_wait_loadcnt 0x1
	s_delay_alu instid0(VALU_DEP_1) | instskip(NEXT) | instid1(VALU_DEP_2)
	v_and_b32_e32 v2, v8, v10
	v_and_b32_e32 v7, v9, v11
	s_wait_loadcnt 0x0
	s_delay_alu instid0(VALU_DEP_2) | instskip(NEXT) | instid1(VALU_DEP_1)
	v_mad_nc_u64_u32 v[2:3], v2, 24, v[12:13]
	v_mad_u32 v3, v7, 24, v3
	global_load_b64 v[8:9], v[2:3], off scope:SCOPE_SYS
	s_wait_xcnt 0x0
	s_wait_loadcnt 0x0
	global_atomic_cmpswap_b64 v[2:3], v6, v[8:11], s[2:3] offset:24 th:TH_ATOMIC_RETURN scope:SCOPE_SYS
	s_wait_loadcnt 0x0
	global_inv scope:SCOPE_SYS
	v_cmp_eq_u64_e32 vcc_lo, v[2:3], v[10:11]
	s_or_b32 s5, vcc_lo, s5
	s_wait_xcnt 0x0
	s_and_not1_b32 exec_lo, exec_lo, s5
	s_cbranch_execnz .LBB1_225
; %bb.226:
	s_or_b32 exec_lo, exec_lo, s5
.LBB1_227:
	s_delay_alu instid0(SALU_CYCLE_1)
	s_or_b32 exec_lo, exec_lo, s4
.LBB1_228:
	s_delay_alu instid0(SALU_CYCLE_1)
	s_or_b32 exec_lo, exec_lo, s1
	v_readfirstlane_b32 s4, v2
	v_mov_b32_e32 v31, 0
	v_readfirstlane_b32 s5, v3
	s_mov_b32 s1, exec_lo
	global_load_b64 v[10:11], v31, s[2:3] offset:40
	s_wait_loadcnt 0x1
	global_load_b128 v[6:9], v31, s[2:3]
	s_wait_loadcnt 0x1
	v_and_b32_e32 v2, s4, v10
	v_and_b32_e32 v3, s5, v11
	s_delay_alu instid0(VALU_DEP_1) | instskip(SKIP_1) | instid1(VALU_DEP_1)
	v_mul_u64_e32 v[10:11], 24, v[2:3]
	s_wait_loadcnt 0x0
	v_add_nc_u64_e32 v[10:11], v[6:7], v[10:11]
	s_wait_xcnt 0x0
	s_and_saveexec_b32 s6, s0
	s_cbranch_execz .LBB1_230
; %bb.229:
	v_mov_b64_e32 v[14:15], 0x100000002
	v_dual_mov_b32 v12, s1 :: v_dual_mov_b32 v13, v31
	global_store_b128 v[10:11], v[12:15], off offset:8
.LBB1_230:
	s_wait_xcnt 0x0
	s_or_b32 exec_lo, exec_lo, s6
	v_lshlrev_b64_e32 v[2:3], 12, v[2:3]
	s_mov_b32 s12, 0
	v_and_or_b32 v0, 0xffffff1f, v0, 32
	s_mov_b32 s13, s12
	s_mov_b32 s14, s12
	;; [unrolled: 1-line block ×3, first 2 shown]
	v_mov_b64_e32 v[12:13], s[12:13]
	v_add_nc_u64_e32 v[8:9], v[8:9], v[2:3]
	v_mov_b64_e32 v[14:15], s[14:15]
	v_dual_mov_b32 v2, v31 :: v_dual_mov_b32 v3, v31
	s_delay_alu instid0(VALU_DEP_3) | instskip(NEXT) | instid1(VALU_DEP_4)
	v_readfirstlane_b32 s6, v8
	v_readfirstlane_b32 s7, v9
	s_clause 0x3
	global_store_b128 v30, v[0:3], s[6:7]
	global_store_b128 v30, v[12:15], s[6:7] offset:16
	global_store_b128 v30, v[12:15], s[6:7] offset:32
	;; [unrolled: 1-line block ×3, first 2 shown]
	s_wait_xcnt 0x0
	s_and_saveexec_b32 s1, s0
	s_cbranch_execz .LBB1_238
; %bb.231:
	v_dual_mov_b32 v12, 0 :: v_dual_mov_b32 v15, s5
	s_mov_b32 s6, exec_lo
	s_clause 0x1
	global_load_b64 v[16:17], v12, s[2:3] offset:32 scope:SCOPE_SYS
	global_load_b64 v[0:1], v12, s[2:3] offset:40
	s_wait_loadcnt 0x0
	v_dual_mov_b32 v14, s4 :: v_dual_bitop2_b32 v1, s5, v1 bitop3:0x40
	v_and_b32_e32 v0, s4, v0
	s_delay_alu instid0(VALU_DEP_1) | instskip(NEXT) | instid1(VALU_DEP_1)
	v_mul_u64_e32 v[0:1], 24, v[0:1]
	v_add_nc_u64_e32 v[6:7], v[6:7], v[0:1]
	global_store_b64 v[6:7], v[16:17], off
	global_wb scope:SCOPE_SYS
	s_wait_storecnt 0x0
	s_wait_xcnt 0x0
	global_atomic_cmpswap_b64 v[2:3], v12, v[14:17], s[2:3] offset:32 th:TH_ATOMIC_RETURN scope:SCOPE_SYS
	s_wait_loadcnt 0x0
	v_cmpx_ne_u64_e64 v[2:3], v[16:17]
	s_cbranch_execz .LBB1_234
; %bb.232:
	s_mov_b32 s7, 0
.LBB1_233:                              ; =>This Inner Loop Header: Depth=1
	v_dual_mov_b32 v0, s4 :: v_dual_mov_b32 v1, s5
	s_sleep 1
	global_store_b64 v[6:7], v[2:3], off
	global_wb scope:SCOPE_SYS
	s_wait_storecnt 0x0
	s_wait_xcnt 0x0
	global_atomic_cmpswap_b64 v[0:1], v12, v[0:3], s[2:3] offset:32 th:TH_ATOMIC_RETURN scope:SCOPE_SYS
	s_wait_loadcnt 0x0
	v_cmp_eq_u64_e32 vcc_lo, v[0:1], v[2:3]
	v_mov_b64_e32 v[2:3], v[0:1]
	s_or_b32 s7, vcc_lo, s7
	s_delay_alu instid0(SALU_CYCLE_1)
	s_and_not1_b32 exec_lo, exec_lo, s7
	s_cbranch_execnz .LBB1_233
.LBB1_234:
	s_or_b32 exec_lo, exec_lo, s6
	v_mov_b32_e32 v3, 0
	s_mov_b32 s7, exec_lo
	s_mov_b32 s6, exec_lo
	v_mbcnt_lo_u32_b32 v2, s7, 0
	global_load_b64 v[0:1], v3, s[2:3] offset:16
	s_wait_xcnt 0x0
	v_cmpx_eq_u32_e32 0, v2
	s_cbranch_execz .LBB1_236
; %bb.235:
	s_bcnt1_i32_b32 s7, s7
	s_delay_alu instid0(SALU_CYCLE_1)
	v_mov_b32_e32 v2, s7
	global_wb scope:SCOPE_SYS
	s_wait_loadcnt 0x0
	s_wait_storecnt 0x0
	global_atomic_add_u64 v[0:1], v[2:3], off offset:8 scope:SCOPE_SYS
.LBB1_236:
	s_wait_xcnt 0x0
	s_or_b32 exec_lo, exec_lo, s6
	s_wait_loadcnt 0x0
	global_load_b64 v[2:3], v[0:1], off offset:16
	s_wait_loadcnt 0x0
	v_cmp_eq_u64_e32 vcc_lo, 0, v[2:3]
	s_cbranch_vccnz .LBB1_238
; %bb.237:
	global_load_b32 v0, v[0:1], off offset:24
	s_wait_xcnt 0x0
	v_mov_b32_e32 v1, 0
	s_wait_loadcnt 0x0
	v_readfirstlane_b32 s6, v0
	global_wb scope:SCOPE_SYS
	s_wait_storecnt 0x0
	global_store_b64 v[2:3], v[0:1], off scope:SCOPE_SYS
	s_and_b32 m0, s6, 0xffffff
	s_sendmsg sendmsg(MSG_INTERRUPT)
.LBB1_238:
	s_wait_xcnt 0x0
	s_or_b32 exec_lo, exec_lo, s1
	v_add_nc_u64_e32 v[0:1], v[8:9], v[30:31]
	s_branch .LBB1_242
.LBB1_239:                              ;   in Loop: Header=BB1_242 Depth=1
	s_wait_xcnt 0x0
	s_or_b32 exec_lo, exec_lo, s1
	s_delay_alu instid0(VALU_DEP_1)
	v_readfirstlane_b32 s1, v2
	s_cmp_eq_u32 s1, 0
	s_cbranch_scc1 .LBB1_241
; %bb.240:                              ;   in Loop: Header=BB1_242 Depth=1
	s_sleep 1
	s_cbranch_execnz .LBB1_242
	s_branch .LBB1_244
.LBB1_241:
	s_branch .LBB1_244
.LBB1_242:                              ; =>This Inner Loop Header: Depth=1
	v_mov_b32_e32 v2, 1
	s_and_saveexec_b32 s1, s0
	s_cbranch_execz .LBB1_239
; %bb.243:                              ;   in Loop: Header=BB1_242 Depth=1
	global_load_b32 v2, v[10:11], off offset:20 scope:SCOPE_SYS
	s_wait_loadcnt 0x0
	global_inv scope:SCOPE_SYS
	v_and_b32_e32 v2, 1, v2
	s_branch .LBB1_239
.LBB1_244:
	global_load_b64 v[6:7], v[0:1], off
	s_wait_xcnt 0x0
	s_and_saveexec_b32 s6, s0
	s_cbranch_execz .LBB1_248
; %bb.245:
	v_mov_b32_e32 v10, 0
	s_clause 0x2
	global_load_b64 v[0:1], v10, s[2:3] offset:40
	global_load_b64 v[14:15], v10, s[2:3] offset:24 scope:SCOPE_SYS
	global_load_b64 v[2:3], v10, s[2:3]
	s_wait_loadcnt 0x2
	v_readfirstlane_b32 s10, v0
	v_readfirstlane_b32 s11, v1
	s_add_nc_u64 s[0:1], s[10:11], 1
	s_delay_alu instid0(SALU_CYCLE_1) | instskip(NEXT) | instid1(SALU_CYCLE_1)
	s_add_nc_u64 s[4:5], s[0:1], s[4:5]
	s_cmp_eq_u64 s[4:5], 0
	s_cselect_b32 s1, s1, s5
	s_cselect_b32 s0, s0, s4
	v_mov_b32_e32 v13, s1
	s_and_b64 s[4:5], s[0:1], s[10:11]
	v_mov_b32_e32 v12, s0
	s_mul_u64 s[4:5], s[4:5], 24
	s_wait_loadcnt 0x0
	v_add_nc_u64_e32 v[8:9], s[4:5], v[2:3]
	global_store_b64 v[8:9], v[14:15], off
	global_wb scope:SCOPE_SYS
	s_wait_storecnt 0x0
	s_wait_xcnt 0x0
	global_atomic_cmpswap_b64 v[2:3], v10, v[12:15], s[2:3] offset:24 th:TH_ATOMIC_RETURN scope:SCOPE_SYS
	s_wait_loadcnt 0x0
	v_cmp_ne_u64_e32 vcc_lo, v[2:3], v[14:15]
	s_and_b32 exec_lo, exec_lo, vcc_lo
	s_cbranch_execz .LBB1_248
; %bb.246:
	s_mov_b32 s4, 0
.LBB1_247:                              ; =>This Inner Loop Header: Depth=1
	v_dual_mov_b32 v0, s0 :: v_dual_mov_b32 v1, s1
	s_sleep 1
	global_store_b64 v[8:9], v[2:3], off
	global_wb scope:SCOPE_SYS
	s_wait_storecnt 0x0
	s_wait_xcnt 0x0
	global_atomic_cmpswap_b64 v[0:1], v10, v[0:3], s[2:3] offset:24 th:TH_ATOMIC_RETURN scope:SCOPE_SYS
	s_wait_loadcnt 0x0
	v_cmp_eq_u64_e32 vcc_lo, v[0:1], v[2:3]
	v_mov_b64_e32 v[2:3], v[0:1]
	s_or_b32 s4, vcc_lo, s4
	s_delay_alu instid0(SALU_CYCLE_1)
	s_and_not1_b32 exec_lo, exec_lo, s4
	s_cbranch_execnz .LBB1_247
.LBB1_248:
	s_or_b32 exec_lo, exec_lo, s6
.LBB1_249:
	v_readfirstlane_b32 s0, v48
	v_mov_b64_e32 v[8:9], 0
	s_delay_alu instid0(VALU_DEP_2)
	v_cmp_eq_u32_e64 s0, s0, v48
	s_and_saveexec_b32 s1, s0
	s_cbranch_execz .LBB1_255
; %bb.250:
	s_wait_loadcnt 0x0
	v_mov_b32_e32 v0, 0
	s_mov_b32 s4, exec_lo
	global_load_b64 v[10:11], v0, s[2:3] offset:24 scope:SCOPE_SYS
	s_wait_loadcnt 0x0
	global_inv scope:SCOPE_SYS
	s_clause 0x1
	global_load_b64 v[2:3], v0, s[2:3] offset:40
	global_load_b64 v[8:9], v0, s[2:3]
	s_wait_loadcnt 0x1
	v_and_b32_e32 v2, v2, v10
	v_and_b32_e32 v3, v3, v11
	s_delay_alu instid0(VALU_DEP_1) | instskip(SKIP_1) | instid1(VALU_DEP_1)
	v_mul_u64_e32 v[2:3], 24, v[2:3]
	s_wait_loadcnt 0x0
	v_add_nc_u64_e32 v[2:3], v[8:9], v[2:3]
	global_load_b64 v[8:9], v[2:3], off scope:SCOPE_SYS
	s_wait_xcnt 0x0
	s_wait_loadcnt 0x0
	global_atomic_cmpswap_b64 v[8:9], v0, v[8:11], s[2:3] offset:24 th:TH_ATOMIC_RETURN scope:SCOPE_SYS
	s_wait_loadcnt 0x0
	global_inv scope:SCOPE_SYS
	s_wait_xcnt 0x0
	v_cmpx_ne_u64_e64 v[8:9], v[10:11]
	s_cbranch_execz .LBB1_254
; %bb.251:
	s_mov_b32 s5, 0
.LBB1_252:                              ; =>This Inner Loop Header: Depth=1
	s_sleep 1
	s_clause 0x1
	global_load_b64 v[2:3], v0, s[2:3] offset:40
	global_load_b64 v[12:13], v0, s[2:3]
	v_mov_b64_e32 v[10:11], v[8:9]
	s_wait_loadcnt 0x1
	s_delay_alu instid0(VALU_DEP_1) | instskip(SKIP_1) | instid1(VALU_DEP_1)
	v_and_b32_e32 v1, v2, v10
	s_wait_loadcnt 0x0
	v_mad_nc_u64_u32 v[8:9], v1, 24, v[12:13]
	s_delay_alu instid0(VALU_DEP_3) | instskip(NEXT) | instid1(VALU_DEP_1)
	v_and_b32_e32 v1, v3, v11
	v_mad_u32 v9, v1, 24, v9
	global_load_b64 v[8:9], v[8:9], off scope:SCOPE_SYS
	s_wait_xcnt 0x0
	s_wait_loadcnt 0x0
	global_atomic_cmpswap_b64 v[8:9], v0, v[8:11], s[2:3] offset:24 th:TH_ATOMIC_RETURN scope:SCOPE_SYS
	s_wait_loadcnt 0x0
	global_inv scope:SCOPE_SYS
	v_cmp_eq_u64_e32 vcc_lo, v[8:9], v[10:11]
	s_or_b32 s5, vcc_lo, s5
	s_wait_xcnt 0x0
	s_and_not1_b32 exec_lo, exec_lo, s5
	s_cbranch_execnz .LBB1_252
; %bb.253:
	s_or_b32 exec_lo, exec_lo, s5
.LBB1_254:
	s_delay_alu instid0(SALU_CYCLE_1)
	s_or_b32 exec_lo, exec_lo, s4
.LBB1_255:
	s_delay_alu instid0(SALU_CYCLE_1)
	s_or_b32 exec_lo, exec_lo, s1
	v_readfirstlane_b32 s4, v8
	v_mov_b32_e32 v31, 0
	v_readfirstlane_b32 s5, v9
	s_mov_b32 s1, exec_lo
	global_load_b64 v[10:11], v31, s[2:3] offset:40
	s_wait_loadcnt 0x1
	global_load_b128 v[0:3], v31, s[2:3]
	s_wait_loadcnt 0x1
	v_and_b32_e32 v8, s4, v10
	v_and_b32_e32 v9, s5, v11
	s_delay_alu instid0(VALU_DEP_1) | instskip(SKIP_1) | instid1(VALU_DEP_1)
	v_mul_u64_e32 v[10:11], 24, v[8:9]
	s_wait_loadcnt 0x0
	v_add_nc_u64_e32 v[10:11], v[0:1], v[10:11]
	s_wait_xcnt 0x0
	s_and_saveexec_b32 s6, s0
	s_cbranch_execz .LBB1_257
; %bb.256:
	v_mov_b64_e32 v[14:15], 0x100000002
	v_dual_mov_b32 v12, s1 :: v_dual_mov_b32 v13, v31
	global_store_b128 v[10:11], v[12:15], off offset:8
.LBB1_257:
	s_wait_xcnt 0x0
	s_or_b32 exec_lo, exec_lo, s6
	v_lshlrev_b64_e32 v[8:9], 12, v[8:9]
	s_mov_b32 s12, 0
	v_and_or_b32 v6, 0xffffff1f, v6, 32
	s_mov_b32 s14, s12
	s_mov_b32 s15, s12
	s_mov_b32 s13, s12
	v_mov_b64_e32 v[16:17], s[14:15]
	v_add_nc_u64_e32 v[12:13], v[2:3], v[8:9]
	v_mov_b64_e32 v[14:15], s[12:13]
	v_dual_mov_b32 v8, 0x331 :: v_dual_mov_b32 v9, v31
	s_delay_alu instid0(VALU_DEP_3) | instskip(NEXT) | instid1(VALU_DEP_4)
	v_readfirstlane_b32 s6, v12
	v_readfirstlane_b32 s7, v13
	s_clause 0x3
	global_store_b128 v30, v[6:9], s[6:7]
	global_store_b128 v30, v[14:17], s[6:7] offset:16
	global_store_b128 v30, v[14:17], s[6:7] offset:32
	;; [unrolled: 1-line block ×3, first 2 shown]
	s_wait_xcnt 0x0
	s_and_saveexec_b32 s1, s0
	s_cbranch_execz .LBB1_265
; %bb.258:
	v_dual_mov_b32 v8, 0 :: v_dual_mov_b32 v15, s5
	s_mov_b32 s6, exec_lo
	s_clause 0x1
	global_load_b64 v[16:17], v8, s[2:3] offset:32 scope:SCOPE_SYS
	global_load_b64 v[2:3], v8, s[2:3] offset:40
	s_wait_loadcnt 0x0
	v_dual_mov_b32 v14, s4 :: v_dual_bitop2_b32 v3, s5, v3 bitop3:0x40
	v_and_b32_e32 v2, s4, v2
	s_delay_alu instid0(VALU_DEP_1) | instskip(NEXT) | instid1(VALU_DEP_1)
	v_mul_u64_e32 v[2:3], 24, v[2:3]
	v_add_nc_u64_e32 v[6:7], v[0:1], v[2:3]
	global_store_b64 v[6:7], v[16:17], off
	global_wb scope:SCOPE_SYS
	s_wait_storecnt 0x0
	s_wait_xcnt 0x0
	global_atomic_cmpswap_b64 v[2:3], v8, v[14:17], s[2:3] offset:32 th:TH_ATOMIC_RETURN scope:SCOPE_SYS
	s_wait_loadcnt 0x0
	v_cmpx_ne_u64_e64 v[2:3], v[16:17]
	s_cbranch_execz .LBB1_261
; %bb.259:
	s_mov_b32 s7, 0
.LBB1_260:                              ; =>This Inner Loop Header: Depth=1
	v_dual_mov_b32 v0, s4 :: v_dual_mov_b32 v1, s5
	s_sleep 1
	global_store_b64 v[6:7], v[2:3], off
	global_wb scope:SCOPE_SYS
	s_wait_storecnt 0x0
	s_wait_xcnt 0x0
	global_atomic_cmpswap_b64 v[0:1], v8, v[0:3], s[2:3] offset:32 th:TH_ATOMIC_RETURN scope:SCOPE_SYS
	s_wait_loadcnt 0x0
	v_cmp_eq_u64_e32 vcc_lo, v[0:1], v[2:3]
	v_mov_b64_e32 v[2:3], v[0:1]
	s_or_b32 s7, vcc_lo, s7
	s_delay_alu instid0(SALU_CYCLE_1)
	s_and_not1_b32 exec_lo, exec_lo, s7
	s_cbranch_execnz .LBB1_260
.LBB1_261:
	s_or_b32 exec_lo, exec_lo, s6
	v_mov_b32_e32 v3, 0
	s_mov_b32 s7, exec_lo
	s_mov_b32 s6, exec_lo
	v_mbcnt_lo_u32_b32 v2, s7, 0
	global_load_b64 v[0:1], v3, s[2:3] offset:16
	s_wait_xcnt 0x0
	v_cmpx_eq_u32_e32 0, v2
	s_cbranch_execz .LBB1_263
; %bb.262:
	s_bcnt1_i32_b32 s7, s7
	s_delay_alu instid0(SALU_CYCLE_1)
	v_mov_b32_e32 v2, s7
	global_wb scope:SCOPE_SYS
	s_wait_loadcnt 0x0
	s_wait_storecnt 0x0
	global_atomic_add_u64 v[0:1], v[2:3], off offset:8 scope:SCOPE_SYS
.LBB1_263:
	s_wait_xcnt 0x0
	s_or_b32 exec_lo, exec_lo, s6
	s_wait_loadcnt 0x0
	global_load_b64 v[2:3], v[0:1], off offset:16
	s_wait_loadcnt 0x0
	v_cmp_eq_u64_e32 vcc_lo, 0, v[2:3]
	s_cbranch_vccnz .LBB1_265
; %bb.264:
	global_load_b32 v0, v[0:1], off offset:24
	s_wait_xcnt 0x0
	v_mov_b32_e32 v1, 0
	s_wait_loadcnt 0x0
	v_readfirstlane_b32 s6, v0
	global_wb scope:SCOPE_SYS
	s_wait_storecnt 0x0
	global_store_b64 v[2:3], v[0:1], off scope:SCOPE_SYS
	s_and_b32 m0, s6, 0xffffff
	s_sendmsg sendmsg(MSG_INTERRUPT)
.LBB1_265:
	s_wait_xcnt 0x0
	s_or_b32 exec_lo, exec_lo, s1
	v_add_nc_u64_e32 v[0:1], v[12:13], v[30:31]
	s_branch .LBB1_269
.LBB1_266:                              ;   in Loop: Header=BB1_269 Depth=1
	s_wait_xcnt 0x0
	s_or_b32 exec_lo, exec_lo, s1
	s_delay_alu instid0(VALU_DEP_1)
	v_readfirstlane_b32 s1, v2
	s_cmp_eq_u32 s1, 0
	s_cbranch_scc1 .LBB1_268
; %bb.267:                              ;   in Loop: Header=BB1_269 Depth=1
	s_sleep 1
	s_cbranch_execnz .LBB1_269
	s_branch .LBB1_271
.LBB1_268:
	s_branch .LBB1_271
.LBB1_269:                              ; =>This Inner Loop Header: Depth=1
	v_mov_b32_e32 v2, 1
	s_and_saveexec_b32 s1, s0
	s_cbranch_execz .LBB1_266
; %bb.270:                              ;   in Loop: Header=BB1_269 Depth=1
	global_load_b32 v2, v[10:11], off offset:20 scope:SCOPE_SYS
	s_wait_loadcnt 0x0
	global_inv scope:SCOPE_SYS
	v_and_b32_e32 v2, 1, v2
	s_branch .LBB1_266
.LBB1_271:
	global_load_b64 v[0:1], v[0:1], off
	s_wait_xcnt 0x0
	s_and_saveexec_b32 s6, s0
	s_cbranch_execz .LBB1_275
; %bb.272:
	v_mov_b32_e32 v10, 0
	s_clause 0x2
	global_load_b64 v[2:3], v10, s[2:3] offset:40
	global_load_b64 v[14:15], v10, s[2:3] offset:24 scope:SCOPE_SYS
	global_load_b64 v[6:7], v10, s[2:3]
	s_wait_loadcnt 0x2
	v_readfirstlane_b32 s10, v2
	v_readfirstlane_b32 s11, v3
	s_add_nc_u64 s[0:1], s[10:11], 1
	s_delay_alu instid0(SALU_CYCLE_1) | instskip(NEXT) | instid1(SALU_CYCLE_1)
	s_add_nc_u64 s[4:5], s[0:1], s[4:5]
	s_cmp_eq_u64 s[4:5], 0
	s_cselect_b32 s1, s1, s5
	s_cselect_b32 s0, s0, s4
	v_mov_b32_e32 v13, s1
	s_and_b64 s[4:5], s[0:1], s[10:11]
	v_mov_b32_e32 v12, s0
	s_mul_u64 s[4:5], s[4:5], 24
	s_wait_loadcnt 0x0
	v_add_nc_u64_e32 v[2:3], s[4:5], v[6:7]
	global_store_b64 v[2:3], v[14:15], off
	global_wb scope:SCOPE_SYS
	s_wait_storecnt 0x0
	s_wait_xcnt 0x0
	global_atomic_cmpswap_b64 v[8:9], v10, v[12:15], s[2:3] offset:24 th:TH_ATOMIC_RETURN scope:SCOPE_SYS
	s_wait_loadcnt 0x0
	v_cmp_ne_u64_e32 vcc_lo, v[8:9], v[14:15]
	s_and_b32 exec_lo, exec_lo, vcc_lo
	s_cbranch_execz .LBB1_275
; %bb.273:
	s_mov_b32 s4, 0
.LBB1_274:                              ; =>This Inner Loop Header: Depth=1
	v_dual_mov_b32 v6, s0 :: v_dual_mov_b32 v7, s1
	s_sleep 1
	global_store_b64 v[2:3], v[8:9], off
	global_wb scope:SCOPE_SYS
	s_wait_storecnt 0x0
	s_wait_xcnt 0x0
	global_atomic_cmpswap_b64 v[6:7], v10, v[6:9], s[2:3] offset:24 th:TH_ATOMIC_RETURN scope:SCOPE_SYS
	s_wait_loadcnt 0x0
	v_cmp_eq_u64_e32 vcc_lo, v[6:7], v[8:9]
	v_mov_b64_e32 v[8:9], v[6:7]
	s_or_b32 s4, vcc_lo, s4
	s_delay_alu instid0(SALU_CYCLE_1)
	s_and_not1_b32 exec_lo, exec_lo, s4
	s_cbranch_execnz .LBB1_274
.LBB1_275:
	s_or_b32 exec_lo, exec_lo, s6
	v_mov_b64_e32 v[2:3], v[4:5]
	s_mov_b32 s0, 0
.LBB1_276:                              ; =>This Inner Loop Header: Depth=1
	global_load_u8 v6, v[2:3], off
	s_wait_xcnt 0x0
	v_add_nc_u64_e32 v[2:3], 1, v[2:3]
	s_wait_loadcnt 0x0
	v_cmp_eq_u16_e32 vcc_lo, 0, v6
	s_or_b32 s0, vcc_lo, s0
	s_delay_alu instid0(SALU_CYCLE_1)
	s_and_not1_b32 exec_lo, exec_lo, s0
	s_cbranch_execnz .LBB1_276
; %bb.277:
	s_or_b32 exec_lo, exec_lo, s0
	s_delay_alu instid0(SALU_CYCLE_1)
	s_mov_b32 s0, exec_lo
	v_cmpx_ne_u64_e32 0, v[4:5]
	s_xor_b32 s6, exec_lo, s0
	s_cbranch_execz .LBB1_363
; %bb.278:
	v_dual_mov_b32 v31, 0 :: v_dual_sub_nc_u32 v26, v2, v4
	v_mov_b64_e32 v[8:9], 0x100000002
	v_and_b32_e32 v28, 2, v0
	s_delay_alu instid0(VALU_DEP_3)
	v_dual_ashrrev_i32 v27, 31, v26 :: v_dual_bitop2_b32 v0, -3, v0 bitop3:0x40
	s_mov_b32 s10, 0
	s_mov_b32 s7, 0
	s_branch .LBB1_280
.LBB1_279:                              ;   in Loop: Header=BB1_280 Depth=1
	s_or_b32 exec_lo, exec_lo, s11
	v_sub_nc_u64_e32 v[26:27], v[26:27], v[32:33]
	v_add_nc_u64_e32 v[4:5], v[4:5], v[32:33]
	s_delay_alu instid0(VALU_DEP_2) | instskip(SKIP_1) | instid1(SALU_CYCLE_1)
	v_cmp_eq_u64_e32 vcc_lo, 0, v[26:27]
	s_or_b32 s7, vcc_lo, s7
	s_and_not1_b32 exec_lo, exec_lo, s7
	s_cbranch_execz .LBB1_362
.LBB1_280:                              ; =>This Loop Header: Depth=1
                                        ;     Child Loop BB1_283 Depth 2
                                        ;     Child Loop BB1_291 Depth 2
	;; [unrolled: 1-line block ×11, first 2 shown]
	s_delay_alu instid0(VALU_DEP_1) | instskip(NEXT) | instid1(VALU_DEP_3)
	v_min_u64 v[32:33], v[26:27], 56
	v_add_nc_u64_e32 v[12:13], 8, v[4:5]
	s_mov_b32 s0, exec_lo
	v_cmpx_gt_u64_e32 8, v[26:27]
	s_xor_b32 s4, exec_lo, s0
	s_cbranch_execz .LBB1_286
; %bb.281:                              ;   in Loop: Header=BB1_280 Depth=1
	v_mov_b64_e32 v[2:3], 0
	s_mov_b32 s5, exec_lo
	v_cmpx_ne_u64_e32 0, v[26:27]
	s_cbranch_execz .LBB1_285
; %bb.282:                              ;   in Loop: Header=BB1_280 Depth=1
	v_mov_b64_e32 v[2:3], 0
	v_mov_b64_e32 v[10:11], v[4:5]
	v_lshlrev_b32_e32 v6, 3, v32
	s_mov_b64 s[0:1], 0
	s_mov_b32 s11, 0
.LBB1_283:                              ;   Parent Loop BB1_280 Depth=1
                                        ; =>  This Inner Loop Header: Depth=2
	global_load_u8 v7, v[10:11], off
	v_mov_b32_e32 v13, s10
	s_wait_xcnt 0x0
	v_add_nc_u64_e32 v[10:11], 1, v[10:11]
	s_wait_loadcnt 0x0
	v_and_b32_e32 v12, 0xffff, v7
	s_delay_alu instid0(VALU_DEP_1) | instskip(SKIP_1) | instid1(SALU_CYCLE_1)
	v_lshlrev_b64_e32 v[12:13], s0, v[12:13]
	s_add_nc_u64 s[0:1], s[0:1], 8
	v_cmp_eq_u32_e32 vcc_lo, s0, v6
	s_delay_alu instid0(VALU_DEP_2) | instskip(NEXT) | instid1(VALU_DEP_3)
	v_or_b32_e32 v3, v13, v3
	v_or_b32_e32 v2, v12, v2
	s_or_b32 s11, vcc_lo, s11
	s_delay_alu instid0(SALU_CYCLE_1)
	s_and_not1_b32 exec_lo, exec_lo, s11
	s_cbranch_execnz .LBB1_283
; %bb.284:                              ;   in Loop: Header=BB1_280 Depth=1
	s_or_b32 exec_lo, exec_lo, s11
.LBB1_285:                              ;   in Loop: Header=BB1_280 Depth=1
	s_delay_alu instid0(SALU_CYCLE_1)
	s_or_b32 exec_lo, exec_lo, s5
	v_mov_b64_e32 v[12:13], v[4:5]
.LBB1_286:                              ;   in Loop: Header=BB1_280 Depth=1
	s_or_saveexec_b32 s0, s4
	v_mov_b32_e32 v14, 0
	s_xor_b32 exec_lo, exec_lo, s0
	s_cbranch_execz .LBB1_288
; %bb.287:                              ;   in Loop: Header=BB1_280 Depth=1
	global_load_b64 v[2:3], v[4:5], off
	v_add_nc_u32_e32 v14, -8, v32
.LBB1_288:                              ;   in Loop: Header=BB1_280 Depth=1
	s_wait_xcnt 0x0
	s_or_b32 exec_lo, exec_lo, s0
	v_add_nc_u64_e32 v[6:7], 8, v[12:13]
                                        ; implicit-def: $vgpr10_vgpr11
	s_mov_b32 s0, exec_lo
	v_cmpx_gt_u32_e32 8, v14
	s_xor_b32 s11, exec_lo, s0
	s_cbranch_execz .LBB1_294
; %bb.289:                              ;   in Loop: Header=BB1_280 Depth=1
	v_mov_b64_e32 v[10:11], 0
	s_mov_b32 s12, exec_lo
	v_cmpx_ne_u32_e32 0, v14
	s_cbranch_execz .LBB1_293
; %bb.290:                              ;   in Loop: Header=BB1_280 Depth=1
	v_mov_b64_e32 v[10:11], 0
	s_mov_b64 s[0:1], 0
	s_mov_b32 s13, 0
	s_mov_b64 s[4:5], 0
.LBB1_291:                              ;   Parent Loop BB1_280 Depth=1
                                        ; =>  This Inner Loop Header: Depth=2
	s_delay_alu instid0(SALU_CYCLE_1) | instskip(SKIP_1) | instid1(SALU_CYCLE_1)
	v_add_nc_u64_e32 v[6:7], s[4:5], v[12:13]
	s_add_nc_u64 s[4:5], s[4:5], 1
	v_cmp_eq_u32_e32 vcc_lo, s4, v14
	global_load_u8 v6, v[6:7], off
	s_wait_xcnt 0x0
	v_mov_b32_e32 v7, s10
	s_or_b32 s13, vcc_lo, s13
	s_wait_loadcnt 0x0
	v_and_b32_e32 v6, 0xffff, v6
	s_delay_alu instid0(VALU_DEP_1) | instskip(SKIP_1) | instid1(VALU_DEP_1)
	v_lshlrev_b64_e32 v[6:7], s0, v[6:7]
	s_add_nc_u64 s[0:1], s[0:1], 8
	v_or_b32_e32 v11, v7, v11
	s_delay_alu instid0(VALU_DEP_2)
	v_or_b32_e32 v10, v6, v10
	s_and_not1_b32 exec_lo, exec_lo, s13
	s_cbranch_execnz .LBB1_291
; %bb.292:                              ;   in Loop: Header=BB1_280 Depth=1
	s_or_b32 exec_lo, exec_lo, s13
.LBB1_293:                              ;   in Loop: Header=BB1_280 Depth=1
	s_delay_alu instid0(SALU_CYCLE_1)
	s_or_b32 exec_lo, exec_lo, s12
	v_mov_b64_e32 v[6:7], v[12:13]
                                        ; implicit-def: $vgpr14
.LBB1_294:                              ;   in Loop: Header=BB1_280 Depth=1
	s_or_saveexec_b32 s0, s11
	v_mov_b32_e32 v15, 0
	s_xor_b32 exec_lo, exec_lo, s0
	s_cbranch_execz .LBB1_296
; %bb.295:                              ;   in Loop: Header=BB1_280 Depth=1
	global_load_b64 v[10:11], v[12:13], off
	v_add_nc_u32_e32 v15, -8, v14
.LBB1_296:                              ;   in Loop: Header=BB1_280 Depth=1
	s_wait_xcnt 0x0
	s_or_b32 exec_lo, exec_lo, s0
	v_add_nc_u64_e32 v[16:17], 8, v[6:7]
	s_mov_b32 s0, exec_lo
	v_cmpx_gt_u32_e32 8, v15
	s_xor_b32 s11, exec_lo, s0
	s_cbranch_execz .LBB1_302
; %bb.297:                              ;   in Loop: Header=BB1_280 Depth=1
	v_mov_b64_e32 v[12:13], 0
	s_mov_b32 s12, exec_lo
	v_cmpx_ne_u32_e32 0, v15
	s_cbranch_execz .LBB1_301
; %bb.298:                              ;   in Loop: Header=BB1_280 Depth=1
	v_mov_b64_e32 v[12:13], 0
	s_mov_b64 s[0:1], 0
	s_mov_b32 s13, 0
	s_mov_b64 s[4:5], 0
.LBB1_299:                              ;   Parent Loop BB1_280 Depth=1
                                        ; =>  This Inner Loop Header: Depth=2
	s_delay_alu instid0(SALU_CYCLE_1) | instskip(SKIP_1) | instid1(SALU_CYCLE_1)
	v_add_nc_u64_e32 v[16:17], s[4:5], v[6:7]
	s_add_nc_u64 s[4:5], s[4:5], 1
	v_cmp_eq_u32_e32 vcc_lo, s4, v15
	global_load_u8 v14, v[16:17], off
	s_wait_xcnt 0x0
	v_mov_b32_e32 v17, s10
	s_or_b32 s13, vcc_lo, s13
	s_wait_loadcnt 0x0
	v_and_b32_e32 v16, 0xffff, v14
	s_delay_alu instid0(VALU_DEP_1) | instskip(SKIP_1) | instid1(VALU_DEP_1)
	v_lshlrev_b64_e32 v[16:17], s0, v[16:17]
	s_add_nc_u64 s[0:1], s[0:1], 8
	v_or_b32_e32 v13, v17, v13
	s_delay_alu instid0(VALU_DEP_2)
	v_or_b32_e32 v12, v16, v12
	s_and_not1_b32 exec_lo, exec_lo, s13
	s_cbranch_execnz .LBB1_299
; %bb.300:                              ;   in Loop: Header=BB1_280 Depth=1
	s_or_b32 exec_lo, exec_lo, s13
.LBB1_301:                              ;   in Loop: Header=BB1_280 Depth=1
	s_delay_alu instid0(SALU_CYCLE_1)
	s_or_b32 exec_lo, exec_lo, s12
	v_mov_b64_e32 v[16:17], v[6:7]
                                        ; implicit-def: $vgpr15
.LBB1_302:                              ;   in Loop: Header=BB1_280 Depth=1
	s_or_saveexec_b32 s0, s11
	v_mov_b32_e32 v18, 0
	s_xor_b32 exec_lo, exec_lo, s0
	s_cbranch_execz .LBB1_304
; %bb.303:                              ;   in Loop: Header=BB1_280 Depth=1
	global_load_b64 v[12:13], v[6:7], off
	v_add_nc_u32_e32 v18, -8, v15
.LBB1_304:                              ;   in Loop: Header=BB1_280 Depth=1
	s_wait_xcnt 0x0
	s_or_b32 exec_lo, exec_lo, s0
	v_add_nc_u64_e32 v[6:7], 8, v[16:17]
                                        ; implicit-def: $vgpr14_vgpr15
	s_mov_b32 s0, exec_lo
	v_cmpx_gt_u32_e32 8, v18
	s_xor_b32 s11, exec_lo, s0
	s_cbranch_execz .LBB1_310
; %bb.305:                              ;   in Loop: Header=BB1_280 Depth=1
	v_mov_b64_e32 v[14:15], 0
	s_mov_b32 s12, exec_lo
	v_cmpx_ne_u32_e32 0, v18
	s_cbranch_execz .LBB1_309
; %bb.306:                              ;   in Loop: Header=BB1_280 Depth=1
	v_mov_b64_e32 v[14:15], 0
	s_mov_b64 s[0:1], 0
	s_mov_b32 s13, 0
	s_mov_b64 s[4:5], 0
.LBB1_307:                              ;   Parent Loop BB1_280 Depth=1
                                        ; =>  This Inner Loop Header: Depth=2
	s_delay_alu instid0(SALU_CYCLE_1) | instskip(SKIP_1) | instid1(SALU_CYCLE_1)
	v_add_nc_u64_e32 v[6:7], s[4:5], v[16:17]
	s_add_nc_u64 s[4:5], s[4:5], 1
	v_cmp_eq_u32_e32 vcc_lo, s4, v18
	global_load_u8 v6, v[6:7], off
	s_wait_xcnt 0x0
	v_mov_b32_e32 v7, s10
	s_or_b32 s13, vcc_lo, s13
	s_wait_loadcnt 0x0
	v_and_b32_e32 v6, 0xffff, v6
	s_delay_alu instid0(VALU_DEP_1) | instskip(SKIP_1) | instid1(VALU_DEP_1)
	v_lshlrev_b64_e32 v[6:7], s0, v[6:7]
	s_add_nc_u64 s[0:1], s[0:1], 8
	v_or_b32_e32 v15, v7, v15
	s_delay_alu instid0(VALU_DEP_2)
	v_or_b32_e32 v14, v6, v14
	s_and_not1_b32 exec_lo, exec_lo, s13
	s_cbranch_execnz .LBB1_307
; %bb.308:                              ;   in Loop: Header=BB1_280 Depth=1
	s_or_b32 exec_lo, exec_lo, s13
.LBB1_309:                              ;   in Loop: Header=BB1_280 Depth=1
	s_delay_alu instid0(SALU_CYCLE_1)
	s_or_b32 exec_lo, exec_lo, s12
	v_mov_b64_e32 v[6:7], v[16:17]
                                        ; implicit-def: $vgpr18
.LBB1_310:                              ;   in Loop: Header=BB1_280 Depth=1
	s_or_saveexec_b32 s0, s11
	v_mov_b32_e32 v19, 0
	s_xor_b32 exec_lo, exec_lo, s0
	s_cbranch_execz .LBB1_312
; %bb.311:                              ;   in Loop: Header=BB1_280 Depth=1
	global_load_b64 v[14:15], v[16:17], off
	v_add_nc_u32_e32 v19, -8, v18
.LBB1_312:                              ;   in Loop: Header=BB1_280 Depth=1
	s_wait_xcnt 0x0
	s_or_b32 exec_lo, exec_lo, s0
	v_add_nc_u64_e32 v[20:21], 8, v[6:7]
	s_mov_b32 s0, exec_lo
	v_cmpx_gt_u32_e32 8, v19
	s_xor_b32 s11, exec_lo, s0
	s_cbranch_execz .LBB1_318
; %bb.313:                              ;   in Loop: Header=BB1_280 Depth=1
	v_mov_b64_e32 v[16:17], 0
	s_mov_b32 s12, exec_lo
	v_cmpx_ne_u32_e32 0, v19
	s_cbranch_execz .LBB1_317
; %bb.314:                              ;   in Loop: Header=BB1_280 Depth=1
	v_mov_b64_e32 v[16:17], 0
	s_mov_b64 s[0:1], 0
	s_mov_b32 s13, 0
	s_mov_b64 s[4:5], 0
.LBB1_315:                              ;   Parent Loop BB1_280 Depth=1
                                        ; =>  This Inner Loop Header: Depth=2
	s_delay_alu instid0(SALU_CYCLE_1) | instskip(SKIP_1) | instid1(SALU_CYCLE_1)
	v_add_nc_u64_e32 v[20:21], s[4:5], v[6:7]
	s_add_nc_u64 s[4:5], s[4:5], 1
	v_cmp_eq_u32_e32 vcc_lo, s4, v19
	global_load_u8 v18, v[20:21], off
	s_wait_xcnt 0x0
	v_mov_b32_e32 v21, s10
	s_or_b32 s13, vcc_lo, s13
	s_wait_loadcnt 0x0
	v_and_b32_e32 v20, 0xffff, v18
	s_delay_alu instid0(VALU_DEP_1) | instskip(SKIP_1) | instid1(VALU_DEP_1)
	v_lshlrev_b64_e32 v[20:21], s0, v[20:21]
	s_add_nc_u64 s[0:1], s[0:1], 8
	v_or_b32_e32 v17, v21, v17
	s_delay_alu instid0(VALU_DEP_2)
	v_or_b32_e32 v16, v20, v16
	s_and_not1_b32 exec_lo, exec_lo, s13
	s_cbranch_execnz .LBB1_315
; %bb.316:                              ;   in Loop: Header=BB1_280 Depth=1
	s_or_b32 exec_lo, exec_lo, s13
.LBB1_317:                              ;   in Loop: Header=BB1_280 Depth=1
	s_delay_alu instid0(SALU_CYCLE_1)
	s_or_b32 exec_lo, exec_lo, s12
	v_mov_b64_e32 v[20:21], v[6:7]
                                        ; implicit-def: $vgpr19
.LBB1_318:                              ;   in Loop: Header=BB1_280 Depth=1
	s_or_saveexec_b32 s0, s11
	v_mov_b32_e32 v22, 0
	s_xor_b32 exec_lo, exec_lo, s0
	s_cbranch_execz .LBB1_320
; %bb.319:                              ;   in Loop: Header=BB1_280 Depth=1
	global_load_b64 v[16:17], v[6:7], off
	v_add_nc_u32_e32 v22, -8, v19
.LBB1_320:                              ;   in Loop: Header=BB1_280 Depth=1
	s_wait_xcnt 0x0
	s_or_b32 exec_lo, exec_lo, s0
	v_add_nc_u64_e32 v[6:7], 8, v[20:21]
                                        ; implicit-def: $vgpr18_vgpr19
	s_mov_b32 s0, exec_lo
	v_cmpx_gt_u32_e32 8, v22
	s_xor_b32 s11, exec_lo, s0
	s_cbranch_execz .LBB1_326
; %bb.321:                              ;   in Loop: Header=BB1_280 Depth=1
	v_mov_b64_e32 v[18:19], 0
	s_mov_b32 s12, exec_lo
	v_cmpx_ne_u32_e32 0, v22
	s_cbranch_execz .LBB1_325
; %bb.322:                              ;   in Loop: Header=BB1_280 Depth=1
	v_mov_b64_e32 v[18:19], 0
	s_mov_b64 s[0:1], 0
	s_mov_b32 s13, 0
	s_mov_b64 s[4:5], 0
.LBB1_323:                              ;   Parent Loop BB1_280 Depth=1
                                        ; =>  This Inner Loop Header: Depth=2
	s_delay_alu instid0(SALU_CYCLE_1) | instskip(SKIP_1) | instid1(SALU_CYCLE_1)
	v_add_nc_u64_e32 v[6:7], s[4:5], v[20:21]
	s_add_nc_u64 s[4:5], s[4:5], 1
	v_cmp_eq_u32_e32 vcc_lo, s4, v22
	global_load_u8 v6, v[6:7], off
	s_wait_xcnt 0x0
	v_mov_b32_e32 v7, s10
	s_or_b32 s13, vcc_lo, s13
	s_wait_loadcnt 0x0
	v_and_b32_e32 v6, 0xffff, v6
	s_delay_alu instid0(VALU_DEP_1) | instskip(SKIP_1) | instid1(VALU_DEP_1)
	v_lshlrev_b64_e32 v[6:7], s0, v[6:7]
	s_add_nc_u64 s[0:1], s[0:1], 8
	v_or_b32_e32 v19, v7, v19
	s_delay_alu instid0(VALU_DEP_2)
	v_or_b32_e32 v18, v6, v18
	s_and_not1_b32 exec_lo, exec_lo, s13
	s_cbranch_execnz .LBB1_323
; %bb.324:                              ;   in Loop: Header=BB1_280 Depth=1
	s_or_b32 exec_lo, exec_lo, s13
.LBB1_325:                              ;   in Loop: Header=BB1_280 Depth=1
	s_delay_alu instid0(SALU_CYCLE_1)
	s_or_b32 exec_lo, exec_lo, s12
	v_mov_b64_e32 v[6:7], v[20:21]
                                        ; implicit-def: $vgpr22
.LBB1_326:                              ;   in Loop: Header=BB1_280 Depth=1
	s_or_saveexec_b32 s0, s11
	v_mov_b32_e32 v23, 0
	s_xor_b32 exec_lo, exec_lo, s0
	s_cbranch_execz .LBB1_328
; %bb.327:                              ;   in Loop: Header=BB1_280 Depth=1
	global_load_b64 v[18:19], v[20:21], off
	v_add_nc_u32_e32 v23, -8, v22
.LBB1_328:                              ;   in Loop: Header=BB1_280 Depth=1
	s_wait_xcnt 0x0
	s_or_b32 exec_lo, exec_lo, s0
	s_delay_alu instid0(SALU_CYCLE_1) | instskip(NEXT) | instid1(VALU_DEP_1)
	s_mov_b32 s0, exec_lo
	v_cmpx_gt_u32_e32 8, v23
	s_xor_b32 s4, exec_lo, s0
	s_cbranch_execz .LBB1_334
; %bb.329:                              ;   in Loop: Header=BB1_280 Depth=1
	v_mov_b64_e32 v[20:21], 0
	s_mov_b32 s5, exec_lo
	v_cmpx_ne_u32_e32 0, v23
	s_cbranch_execz .LBB1_333
; %bb.330:                              ;   in Loop: Header=BB1_280 Depth=1
	v_mov_b64_e32 v[20:21], 0
	s_mov_b64 s[0:1], 0
	s_mov_b32 s11, 0
.LBB1_331:                              ;   Parent Loop BB1_280 Depth=1
                                        ; =>  This Inner Loop Header: Depth=2
	global_load_u8 v22, v[6:7], off
	v_dual_mov_b32 v25, s10 :: v_dual_add_nc_u32 v23, -1, v23
	s_wait_xcnt 0x0
	v_add_nc_u64_e32 v[6:7], 1, v[6:7]
	s_delay_alu instid0(VALU_DEP_2) | instskip(SKIP_3) | instid1(VALU_DEP_1)
	v_cmp_eq_u32_e32 vcc_lo, 0, v23
	s_or_b32 s11, vcc_lo, s11
	s_wait_loadcnt 0x0
	v_and_b32_e32 v24, 0xffff, v22
	v_lshlrev_b64_e32 v[24:25], s0, v[24:25]
	s_add_nc_u64 s[0:1], s[0:1], 8
	s_delay_alu instid0(VALU_DEP_1) | instskip(NEXT) | instid1(VALU_DEP_2)
	v_or_b32_e32 v21, v25, v21
	v_or_b32_e32 v20, v24, v20
	s_and_not1_b32 exec_lo, exec_lo, s11
	s_cbranch_execnz .LBB1_331
; %bb.332:                              ;   in Loop: Header=BB1_280 Depth=1
	s_or_b32 exec_lo, exec_lo, s11
.LBB1_333:                              ;   in Loop: Header=BB1_280 Depth=1
	s_delay_alu instid0(SALU_CYCLE_1)
	s_or_b32 exec_lo, exec_lo, s5
                                        ; implicit-def: $vgpr6_vgpr7
.LBB1_334:                              ;   in Loop: Header=BB1_280 Depth=1
	s_and_not1_saveexec_b32 s0, s4
	s_cbranch_execz .LBB1_336
; %bb.335:                              ;   in Loop: Header=BB1_280 Depth=1
	global_load_b64 v[20:21], v[6:7], off
.LBB1_336:                              ;   in Loop: Header=BB1_280 Depth=1
	s_wait_xcnt 0x0
	s_or_b32 exec_lo, exec_lo, s0
	v_readfirstlane_b32 s0, v48
	v_mov_b64_e32 v[6:7], 0
	s_delay_alu instid0(VALU_DEP_2)
	v_cmp_eq_u32_e64 s0, s0, v48
	s_and_saveexec_b32 s1, s0
	s_cbranch_execz .LBB1_342
; %bb.337:                              ;   in Loop: Header=BB1_280 Depth=1
	global_load_b64 v[24:25], v31, s[2:3] offset:24 scope:SCOPE_SYS
	s_wait_loadcnt 0x0
	global_inv scope:SCOPE_SYS
	s_clause 0x1
	global_load_b64 v[6:7], v31, s[2:3] offset:40
	global_load_b64 v[22:23], v31, s[2:3]
	s_mov_b32 s4, exec_lo
	s_wait_loadcnt 0x1
	v_and_b32_e32 v6, v6, v24
	v_and_b32_e32 v7, v7, v25
	s_delay_alu instid0(VALU_DEP_1) | instskip(SKIP_1) | instid1(VALU_DEP_1)
	v_mul_u64_e32 v[6:7], 24, v[6:7]
	s_wait_loadcnt 0x0
	v_add_nc_u64_e32 v[6:7], v[22:23], v[6:7]
	global_load_b64 v[22:23], v[6:7], off scope:SCOPE_SYS
	s_wait_xcnt 0x0
	s_wait_loadcnt 0x0
	global_atomic_cmpswap_b64 v[6:7], v31, v[22:25], s[2:3] offset:24 th:TH_ATOMIC_RETURN scope:SCOPE_SYS
	s_wait_loadcnt 0x0
	global_inv scope:SCOPE_SYS
	s_wait_xcnt 0x0
	v_cmpx_ne_u64_e64 v[6:7], v[24:25]
	s_cbranch_execz .LBB1_341
; %bb.338:                              ;   in Loop: Header=BB1_280 Depth=1
	s_mov_b32 s5, 0
.LBB1_339:                              ;   Parent Loop BB1_280 Depth=1
                                        ; =>  This Inner Loop Header: Depth=2
	s_sleep 1
	s_clause 0x1
	global_load_b64 v[22:23], v31, s[2:3] offset:40
	global_load_b64 v[34:35], v31, s[2:3]
	v_mov_b64_e32 v[24:25], v[6:7]
	s_wait_loadcnt 0x1
	s_delay_alu instid0(VALU_DEP_1) | instskip(NEXT) | instid1(VALU_DEP_2)
	v_and_b32_e32 v6, v22, v24
	v_and_b32_e32 v22, v23, v25
	s_wait_loadcnt 0x0
	s_delay_alu instid0(VALU_DEP_2) | instskip(NEXT) | instid1(VALU_DEP_1)
	v_mad_nc_u64_u32 v[6:7], v6, 24, v[34:35]
	v_mad_u32 v7, v22, 24, v7
	global_load_b64 v[22:23], v[6:7], off scope:SCOPE_SYS
	s_wait_xcnt 0x0
	s_wait_loadcnt 0x0
	global_atomic_cmpswap_b64 v[6:7], v31, v[22:25], s[2:3] offset:24 th:TH_ATOMIC_RETURN scope:SCOPE_SYS
	s_wait_loadcnt 0x0
	global_inv scope:SCOPE_SYS
	v_cmp_eq_u64_e32 vcc_lo, v[6:7], v[24:25]
	s_or_b32 s5, vcc_lo, s5
	s_wait_xcnt 0x0
	s_and_not1_b32 exec_lo, exec_lo, s5
	s_cbranch_execnz .LBB1_339
; %bb.340:                              ;   in Loop: Header=BB1_280 Depth=1
	s_or_b32 exec_lo, exec_lo, s5
.LBB1_341:                              ;   in Loop: Header=BB1_280 Depth=1
	s_delay_alu instid0(SALU_CYCLE_1)
	s_or_b32 exec_lo, exec_lo, s4
.LBB1_342:                              ;   in Loop: Header=BB1_280 Depth=1
	s_delay_alu instid0(SALU_CYCLE_1)
	s_or_b32 exec_lo, exec_lo, s1
	s_clause 0x1
	global_load_b64 v[34:35], v31, s[2:3] offset:40
	global_load_b128 v[22:25], v31, s[2:3]
	v_readfirstlane_b32 s4, v6
	v_readfirstlane_b32 s5, v7
	s_mov_b32 s1, exec_lo
	s_wait_loadcnt 0x1
	v_and_b32_e32 v36, s4, v34
	v_and_b32_e32 v37, s5, v35
	s_delay_alu instid0(VALU_DEP_1) | instskip(SKIP_1) | instid1(VALU_DEP_1)
	v_mul_u64_e32 v[6:7], 24, v[36:37]
	s_wait_loadcnt 0x0
	v_add_nc_u64_e32 v[34:35], v[22:23], v[6:7]
	s_wait_xcnt 0x0
	s_and_saveexec_b32 s11, s0
	s_cbranch_execz .LBB1_344
; %bb.343:                              ;   in Loop: Header=BB1_280 Depth=1
	v_dual_mov_b32 v6, s1 :: v_dual_mov_b32 v7, v31
	global_store_b128 v[34:35], v[6:9], off offset:8
.LBB1_344:                              ;   in Loop: Header=BB1_280 Depth=1
	s_wait_xcnt 0x0
	s_or_b32 exec_lo, exec_lo, s11
	v_cmp_gt_u64_e32 vcc_lo, 57, v[26:27]
	v_lshlrev_b64_e32 v[6:7], 12, v[36:37]
	v_and_b32_e32 v0, 0xffffff1f, v0
	v_lshl_add_u32 v36, v32, 2, 28
	v_cndmask_b32_e32 v29, 0, v28, vcc_lo
	s_delay_alu instid0(VALU_DEP_4) | instskip(NEXT) | instid1(VALU_DEP_2)
	v_add_nc_u64_e32 v[6:7], v[24:25], v[6:7]
	v_or_b32_e32 v0, v0, v29
	s_delay_alu instid0(VALU_DEP_2) | instskip(NEXT) | instid1(VALU_DEP_3)
	v_readfirstlane_b32 s12, v6
	v_readfirstlane_b32 s13, v7
	s_delay_alu instid0(VALU_DEP_3)
	v_and_or_b32 v0, 0x1e0, v36, v0
	s_clause 0x3
	global_store_b128 v30, v[0:3], s[12:13]
	global_store_b128 v30, v[10:13], s[12:13] offset:16
	global_store_b128 v30, v[14:17], s[12:13] offset:32
	;; [unrolled: 1-line block ×3, first 2 shown]
	s_wait_xcnt 0x0
	s_and_saveexec_b32 s1, s0
	s_cbranch_execz .LBB1_352
; %bb.345:                              ;   in Loop: Header=BB1_280 Depth=1
	s_clause 0x1
	global_load_b64 v[14:15], v31, s[2:3] offset:32 scope:SCOPE_SYS
	global_load_b64 v[0:1], v31, s[2:3] offset:40
	s_mov_b32 s11, exec_lo
	v_dual_mov_b32 v12, s4 :: v_dual_mov_b32 v13, s5
	s_wait_loadcnt 0x0
	v_and_b32_e32 v1, s5, v1
	v_and_b32_e32 v0, s4, v0
	s_delay_alu instid0(VALU_DEP_1) | instskip(NEXT) | instid1(VALU_DEP_1)
	v_mul_u64_e32 v[0:1], 24, v[0:1]
	v_add_nc_u64_e32 v[10:11], v[22:23], v[0:1]
	global_store_b64 v[10:11], v[14:15], off
	global_wb scope:SCOPE_SYS
	s_wait_storecnt 0x0
	s_wait_xcnt 0x0
	global_atomic_cmpswap_b64 v[2:3], v31, v[12:15], s[2:3] offset:32 th:TH_ATOMIC_RETURN scope:SCOPE_SYS
	s_wait_loadcnt 0x0
	v_cmpx_ne_u64_e64 v[2:3], v[14:15]
	s_cbranch_execz .LBB1_348
; %bb.346:                              ;   in Loop: Header=BB1_280 Depth=1
	s_mov_b32 s12, 0
.LBB1_347:                              ;   Parent Loop BB1_280 Depth=1
                                        ; =>  This Inner Loop Header: Depth=2
	v_dual_mov_b32 v0, s4 :: v_dual_mov_b32 v1, s5
	s_sleep 1
	global_store_b64 v[10:11], v[2:3], off
	global_wb scope:SCOPE_SYS
	s_wait_storecnt 0x0
	s_wait_xcnt 0x0
	global_atomic_cmpswap_b64 v[0:1], v31, v[0:3], s[2:3] offset:32 th:TH_ATOMIC_RETURN scope:SCOPE_SYS
	s_wait_loadcnt 0x0
	v_cmp_eq_u64_e32 vcc_lo, v[0:1], v[2:3]
	v_mov_b64_e32 v[2:3], v[0:1]
	s_or_b32 s12, vcc_lo, s12
	s_delay_alu instid0(SALU_CYCLE_1)
	s_and_not1_b32 exec_lo, exec_lo, s12
	s_cbranch_execnz .LBB1_347
.LBB1_348:                              ;   in Loop: Header=BB1_280 Depth=1
	s_or_b32 exec_lo, exec_lo, s11
	global_load_b64 v[0:1], v31, s[2:3] offset:16
	s_mov_b32 s12, exec_lo
	s_mov_b32 s11, exec_lo
	v_mbcnt_lo_u32_b32 v2, s12, 0
	s_wait_xcnt 0x0
	s_delay_alu instid0(VALU_DEP_1)
	v_cmpx_eq_u32_e32 0, v2
	s_cbranch_execz .LBB1_350
; %bb.349:                              ;   in Loop: Header=BB1_280 Depth=1
	s_bcnt1_i32_b32 s12, s12
	s_delay_alu instid0(SALU_CYCLE_1)
	v_dual_mov_b32 v3, v31 :: v_dual_mov_b32 v2, s12
	global_wb scope:SCOPE_SYS
	s_wait_loadcnt 0x0
	s_wait_storecnt 0x0
	global_atomic_add_u64 v[0:1], v[2:3], off offset:8 scope:SCOPE_SYS
.LBB1_350:                              ;   in Loop: Header=BB1_280 Depth=1
	s_wait_xcnt 0x0
	s_or_b32 exec_lo, exec_lo, s11
	s_wait_loadcnt 0x0
	global_load_b64 v[2:3], v[0:1], off offset:16
	s_wait_loadcnt 0x0
	v_cmp_eq_u64_e32 vcc_lo, 0, v[2:3]
	s_cbranch_vccnz .LBB1_352
; %bb.351:                              ;   in Loop: Header=BB1_280 Depth=1
	global_load_b32 v0, v[0:1], off offset:24
	s_wait_xcnt 0x0
	v_mov_b32_e32 v1, v31
	s_wait_loadcnt 0x0
	v_readfirstlane_b32 s11, v0
	global_wb scope:SCOPE_SYS
	s_wait_storecnt 0x0
	global_store_b64 v[2:3], v[0:1], off scope:SCOPE_SYS
	s_and_b32 m0, s11, 0xffffff
	s_sendmsg sendmsg(MSG_INTERRUPT)
.LBB1_352:                              ;   in Loop: Header=BB1_280 Depth=1
	s_wait_xcnt 0x0
	s_or_b32 exec_lo, exec_lo, s1
	v_add_nc_u64_e32 v[0:1], v[6:7], v[30:31]
	s_branch .LBB1_356
.LBB1_353:                              ;   in Loop: Header=BB1_356 Depth=2
	s_wait_xcnt 0x0
	s_or_b32 exec_lo, exec_lo, s1
	s_delay_alu instid0(VALU_DEP_1)
	v_readfirstlane_b32 s1, v2
	s_cmp_eq_u32 s1, 0
	s_cbranch_scc1 .LBB1_355
; %bb.354:                              ;   in Loop: Header=BB1_356 Depth=2
	s_sleep 1
	s_cbranch_execnz .LBB1_356
	s_branch .LBB1_358
.LBB1_355:                              ;   in Loop: Header=BB1_280 Depth=1
	s_branch .LBB1_358
.LBB1_356:                              ;   Parent Loop BB1_280 Depth=1
                                        ; =>  This Inner Loop Header: Depth=2
	v_mov_b32_e32 v2, 1
	s_and_saveexec_b32 s1, s0
	s_cbranch_execz .LBB1_353
; %bb.357:                              ;   in Loop: Header=BB1_356 Depth=2
	global_load_b32 v2, v[34:35], off offset:20 scope:SCOPE_SYS
	s_wait_loadcnt 0x0
	global_inv scope:SCOPE_SYS
	v_and_b32_e32 v2, 1, v2
	s_branch .LBB1_353
.LBB1_358:                              ;   in Loop: Header=BB1_280 Depth=1
	global_load_b64 v[0:1], v[0:1], off
	s_wait_xcnt 0x0
	s_and_saveexec_b32 s11, s0
	s_cbranch_execz .LBB1_279
; %bb.359:                              ;   in Loop: Header=BB1_280 Depth=1
	s_clause 0x2
	global_load_b64 v[2:3], v31, s[2:3] offset:40
	global_load_b64 v[14:15], v31, s[2:3] offset:24 scope:SCOPE_SYS
	global_load_b64 v[6:7], v31, s[2:3]
	s_wait_loadcnt 0x2
	v_readfirstlane_b32 s12, v2
	v_readfirstlane_b32 s13, v3
	s_add_nc_u64 s[0:1], s[12:13], 1
	s_delay_alu instid0(SALU_CYCLE_1) | instskip(NEXT) | instid1(SALU_CYCLE_1)
	s_add_nc_u64 s[4:5], s[0:1], s[4:5]
	s_cmp_eq_u64 s[4:5], 0
	s_cselect_b32 s1, s1, s5
	s_cselect_b32 s0, s0, s4
	s_delay_alu instid0(SALU_CYCLE_1) | instskip(SKIP_1) | instid1(SALU_CYCLE_1)
	v_dual_mov_b32 v13, s1 :: v_dual_mov_b32 v12, s0
	s_and_b64 s[4:5], s[0:1], s[12:13]
	s_mul_u64 s[4:5], s[4:5], 24
	s_wait_loadcnt 0x0
	v_add_nc_u64_e32 v[2:3], s[4:5], v[6:7]
	global_store_b64 v[2:3], v[14:15], off
	global_wb scope:SCOPE_SYS
	s_wait_storecnt 0x0
	s_wait_xcnt 0x0
	global_atomic_cmpswap_b64 v[12:13], v31, v[12:15], s[2:3] offset:24 th:TH_ATOMIC_RETURN scope:SCOPE_SYS
	s_wait_loadcnt 0x0
	v_cmp_ne_u64_e32 vcc_lo, v[12:13], v[14:15]
	s_and_b32 exec_lo, exec_lo, vcc_lo
	s_cbranch_execz .LBB1_279
; %bb.360:                              ;   in Loop: Header=BB1_280 Depth=1
	s_mov_b32 s4, 0
.LBB1_361:                              ;   Parent Loop BB1_280 Depth=1
                                        ; =>  This Inner Loop Header: Depth=2
	v_dual_mov_b32 v10, s0 :: v_dual_mov_b32 v11, s1
	s_sleep 1
	global_store_b64 v[2:3], v[12:13], off
	global_wb scope:SCOPE_SYS
	s_wait_storecnt 0x0
	s_wait_xcnt 0x0
	global_atomic_cmpswap_b64 v[6:7], v31, v[10:13], s[2:3] offset:24 th:TH_ATOMIC_RETURN scope:SCOPE_SYS
	s_wait_loadcnt 0x0
	v_cmp_eq_u64_e32 vcc_lo, v[6:7], v[12:13]
	v_mov_b64_e32 v[12:13], v[6:7]
	s_or_b32 s4, vcc_lo, s4
	s_delay_alu instid0(SALU_CYCLE_1)
	s_and_not1_b32 exec_lo, exec_lo, s4
	s_cbranch_execnz .LBB1_361
	s_branch .LBB1_279
.LBB1_362:
	s_or_b32 exec_lo, exec_lo, s7
                                        ; implicit-def: $vgpr30
                                        ; implicit-def: $vgpr48
.LBB1_363:
	s_and_not1_saveexec_b32 s6, s6
	s_cbranch_execz .LBB1_391
; %bb.364:
	v_readfirstlane_b32 s0, v48
	v_mov_b64_e32 v[2:3], 0
	s_delay_alu instid0(VALU_DEP_2)
	v_cmp_eq_u32_e64 s0, s0, v48
	s_and_saveexec_b32 s1, s0
	s_cbranch_execz .LBB1_370
; %bb.365:
	v_mov_b32_e32 v4, 0
	s_mov_b32 s4, exec_lo
	global_load_b64 v[8:9], v4, s[2:3] offset:24 scope:SCOPE_SYS
	s_wait_loadcnt 0x0
	global_inv scope:SCOPE_SYS
	s_clause 0x1
	global_load_b64 v[2:3], v4, s[2:3] offset:40
	global_load_b64 v[6:7], v4, s[2:3]
	s_wait_loadcnt 0x1
	v_and_b32_e32 v2, v2, v8
	v_and_b32_e32 v3, v3, v9
	s_delay_alu instid0(VALU_DEP_1) | instskip(SKIP_1) | instid1(VALU_DEP_1)
	v_mul_u64_e32 v[2:3], 24, v[2:3]
	s_wait_loadcnt 0x0
	v_add_nc_u64_e32 v[2:3], v[6:7], v[2:3]
	global_load_b64 v[6:7], v[2:3], off scope:SCOPE_SYS
	s_wait_xcnt 0x0
	s_wait_loadcnt 0x0
	global_atomic_cmpswap_b64 v[2:3], v4, v[6:9], s[2:3] offset:24 th:TH_ATOMIC_RETURN scope:SCOPE_SYS
	s_wait_loadcnt 0x0
	global_inv scope:SCOPE_SYS
	s_wait_xcnt 0x0
	v_cmpx_ne_u64_e64 v[2:3], v[8:9]
	s_cbranch_execz .LBB1_369
; %bb.366:
	s_mov_b32 s5, 0
.LBB1_367:                              ; =>This Inner Loop Header: Depth=1
	s_sleep 1
	s_clause 0x1
	global_load_b64 v[6:7], v4, s[2:3] offset:40
	global_load_b64 v[10:11], v4, s[2:3]
	v_mov_b64_e32 v[8:9], v[2:3]
	s_wait_loadcnt 0x1
	s_delay_alu instid0(VALU_DEP_1) | instskip(NEXT) | instid1(VALU_DEP_2)
	v_and_b32_e32 v2, v6, v8
	v_and_b32_e32 v5, v7, v9
	s_wait_loadcnt 0x0
	s_delay_alu instid0(VALU_DEP_2) | instskip(NEXT) | instid1(VALU_DEP_1)
	v_mad_nc_u64_u32 v[2:3], v2, 24, v[10:11]
	v_mad_u32 v3, v5, 24, v3
	global_load_b64 v[6:7], v[2:3], off scope:SCOPE_SYS
	s_wait_xcnt 0x0
	s_wait_loadcnt 0x0
	global_atomic_cmpswap_b64 v[2:3], v4, v[6:9], s[2:3] offset:24 th:TH_ATOMIC_RETURN scope:SCOPE_SYS
	s_wait_loadcnt 0x0
	global_inv scope:SCOPE_SYS
	v_cmp_eq_u64_e32 vcc_lo, v[2:3], v[8:9]
	s_or_b32 s5, vcc_lo, s5
	s_wait_xcnt 0x0
	s_and_not1_b32 exec_lo, exec_lo, s5
	s_cbranch_execnz .LBB1_367
; %bb.368:
	s_or_b32 exec_lo, exec_lo, s5
.LBB1_369:
	s_delay_alu instid0(SALU_CYCLE_1)
	s_or_b32 exec_lo, exec_lo, s4
.LBB1_370:
	s_delay_alu instid0(SALU_CYCLE_1)
	s_or_b32 exec_lo, exec_lo, s1
	v_readfirstlane_b32 s4, v2
	v_mov_b32_e32 v31, 0
	v_readfirstlane_b32 s5, v3
	s_mov_b32 s1, exec_lo
	s_clause 0x1
	global_load_b64 v[8:9], v31, s[2:3] offset:40
	global_load_b128 v[4:7], v31, s[2:3]
	s_wait_loadcnt 0x1
	v_and_b32_e32 v2, s4, v8
	v_and_b32_e32 v3, s5, v9
	s_delay_alu instid0(VALU_DEP_1) | instskip(SKIP_1) | instid1(VALU_DEP_1)
	v_mul_u64_e32 v[8:9], 24, v[2:3]
	s_wait_loadcnt 0x0
	v_add_nc_u64_e32 v[8:9], v[4:5], v[8:9]
	s_wait_xcnt 0x0
	s_and_saveexec_b32 s7, s0
	s_cbranch_execz .LBB1_372
; %bb.371:
	v_mov_b64_e32 v[12:13], 0x100000002
	v_dual_mov_b32 v10, s1 :: v_dual_mov_b32 v11, v31
	global_store_b128 v[8:9], v[10:13], off offset:8
.LBB1_372:
	s_wait_xcnt 0x0
	s_or_b32 exec_lo, exec_lo, s7
	v_lshlrev_b64_e32 v[2:3], 12, v[2:3]
	s_mov_b32 s12, 0
	v_and_or_b32 v0, 0xffffff1f, v0, 32
	s_mov_b32 s13, s12
	s_mov_b32 s14, s12
	;; [unrolled: 1-line block ×3, first 2 shown]
	v_mov_b64_e32 v[10:11], s[12:13]
	v_add_nc_u64_e32 v[6:7], v[6:7], v[2:3]
	v_mov_b64_e32 v[12:13], s[14:15]
	v_dual_mov_b32 v2, v31 :: v_dual_mov_b32 v3, v31
	s_delay_alu instid0(VALU_DEP_3) | instskip(NEXT) | instid1(VALU_DEP_4)
	v_readfirstlane_b32 s10, v6
	v_readfirstlane_b32 s11, v7
	s_clause 0x3
	global_store_b128 v30, v[0:3], s[10:11]
	global_store_b128 v30, v[10:13], s[10:11] offset:16
	global_store_b128 v30, v[10:13], s[10:11] offset:32
	global_store_b128 v30, v[10:13], s[10:11] offset:48
	s_wait_xcnt 0x0
	s_and_saveexec_b32 s1, s0
	s_cbranch_execz .LBB1_380
; %bb.373:
	v_dual_mov_b32 v10, 0 :: v_dual_mov_b32 v13, s5
	s_mov_b32 s7, exec_lo
	s_clause 0x1
	global_load_b64 v[14:15], v10, s[2:3] offset:32 scope:SCOPE_SYS
	global_load_b64 v[0:1], v10, s[2:3] offset:40
	s_wait_loadcnt 0x0
	v_dual_mov_b32 v12, s4 :: v_dual_bitop2_b32 v1, s5, v1 bitop3:0x40
	v_and_b32_e32 v0, s4, v0
	s_delay_alu instid0(VALU_DEP_1) | instskip(NEXT) | instid1(VALU_DEP_1)
	v_mul_u64_e32 v[0:1], 24, v[0:1]
	v_add_nc_u64_e32 v[4:5], v[4:5], v[0:1]
	global_store_b64 v[4:5], v[14:15], off
	global_wb scope:SCOPE_SYS
	s_wait_storecnt 0x0
	s_wait_xcnt 0x0
	global_atomic_cmpswap_b64 v[2:3], v10, v[12:15], s[2:3] offset:32 th:TH_ATOMIC_RETURN scope:SCOPE_SYS
	s_wait_loadcnt 0x0
	v_cmpx_ne_u64_e64 v[2:3], v[14:15]
	s_cbranch_execz .LBB1_376
; %bb.374:
	s_mov_b32 s10, 0
.LBB1_375:                              ; =>This Inner Loop Header: Depth=1
	v_dual_mov_b32 v0, s4 :: v_dual_mov_b32 v1, s5
	s_sleep 1
	global_store_b64 v[4:5], v[2:3], off
	global_wb scope:SCOPE_SYS
	s_wait_storecnt 0x0
	s_wait_xcnt 0x0
	global_atomic_cmpswap_b64 v[0:1], v10, v[0:3], s[2:3] offset:32 th:TH_ATOMIC_RETURN scope:SCOPE_SYS
	s_wait_loadcnt 0x0
	v_cmp_eq_u64_e32 vcc_lo, v[0:1], v[2:3]
	v_mov_b64_e32 v[2:3], v[0:1]
	s_or_b32 s10, vcc_lo, s10
	s_delay_alu instid0(SALU_CYCLE_1)
	s_and_not1_b32 exec_lo, exec_lo, s10
	s_cbranch_execnz .LBB1_375
.LBB1_376:
	s_or_b32 exec_lo, exec_lo, s7
	v_mov_b32_e32 v3, 0
	s_mov_b32 s10, exec_lo
	s_mov_b32 s7, exec_lo
	v_mbcnt_lo_u32_b32 v2, s10, 0
	global_load_b64 v[0:1], v3, s[2:3] offset:16
	s_wait_xcnt 0x0
	v_cmpx_eq_u32_e32 0, v2
	s_cbranch_execz .LBB1_378
; %bb.377:
	s_bcnt1_i32_b32 s10, s10
	s_delay_alu instid0(SALU_CYCLE_1)
	v_mov_b32_e32 v2, s10
	global_wb scope:SCOPE_SYS
	s_wait_loadcnt 0x0
	s_wait_storecnt 0x0
	global_atomic_add_u64 v[0:1], v[2:3], off offset:8 scope:SCOPE_SYS
.LBB1_378:
	s_wait_xcnt 0x0
	s_or_b32 exec_lo, exec_lo, s7
	s_wait_loadcnt 0x0
	global_load_b64 v[2:3], v[0:1], off offset:16
	s_wait_loadcnt 0x0
	v_cmp_eq_u64_e32 vcc_lo, 0, v[2:3]
	s_cbranch_vccnz .LBB1_380
; %bb.379:
	global_load_b32 v0, v[0:1], off offset:24
	s_wait_xcnt 0x0
	v_mov_b32_e32 v1, 0
	s_wait_loadcnt 0x0
	v_readfirstlane_b32 s7, v0
	global_wb scope:SCOPE_SYS
	s_wait_storecnt 0x0
	global_store_b64 v[2:3], v[0:1], off scope:SCOPE_SYS
	s_and_b32 m0, s7, 0xffffff
	s_sendmsg sendmsg(MSG_INTERRUPT)
.LBB1_380:
	s_wait_xcnt 0x0
	s_or_b32 exec_lo, exec_lo, s1
	v_add_nc_u64_e32 v[0:1], v[6:7], v[30:31]
	s_branch .LBB1_384
.LBB1_381:                              ;   in Loop: Header=BB1_384 Depth=1
	s_wait_xcnt 0x0
	s_or_b32 exec_lo, exec_lo, s1
	s_delay_alu instid0(VALU_DEP_1)
	v_readfirstlane_b32 s1, v2
	s_cmp_eq_u32 s1, 0
	s_cbranch_scc1 .LBB1_383
; %bb.382:                              ;   in Loop: Header=BB1_384 Depth=1
	s_sleep 1
	s_cbranch_execnz .LBB1_384
	s_branch .LBB1_386
.LBB1_383:
	s_branch .LBB1_386
.LBB1_384:                              ; =>This Inner Loop Header: Depth=1
	v_mov_b32_e32 v2, 1
	s_and_saveexec_b32 s1, s0
	s_cbranch_execz .LBB1_381
; %bb.385:                              ;   in Loop: Header=BB1_384 Depth=1
	global_load_b32 v2, v[8:9], off offset:20 scope:SCOPE_SYS
	s_wait_loadcnt 0x0
	global_inv scope:SCOPE_SYS
	v_and_b32_e32 v2, 1, v2
	s_branch .LBB1_381
.LBB1_386:
	global_load_b64 v[0:1], v[0:1], off
	s_wait_xcnt 0x0
	s_and_saveexec_b32 s7, s0
	s_cbranch_execz .LBB1_390
; %bb.387:
	v_mov_b32_e32 v8, 0
	s_clause 0x2
	global_load_b64 v[2:3], v8, s[2:3] offset:40
	global_load_b64 v[12:13], v8, s[2:3] offset:24 scope:SCOPE_SYS
	global_load_b64 v[4:5], v8, s[2:3]
	s_wait_loadcnt 0x2
	v_readfirstlane_b32 s10, v2
	v_readfirstlane_b32 s11, v3
	s_add_nc_u64 s[0:1], s[10:11], 1
	s_delay_alu instid0(SALU_CYCLE_1) | instskip(NEXT) | instid1(SALU_CYCLE_1)
	s_add_nc_u64 s[4:5], s[0:1], s[4:5]
	s_cmp_eq_u64 s[4:5], 0
	s_cselect_b32 s1, s1, s5
	s_cselect_b32 s0, s0, s4
	v_mov_b32_e32 v11, s1
	s_and_b64 s[4:5], s[0:1], s[10:11]
	v_mov_b32_e32 v10, s0
	s_mul_u64 s[4:5], s[4:5], 24
	s_wait_loadcnt 0x0
	v_add_nc_u64_e32 v[6:7], s[4:5], v[4:5]
	global_store_b64 v[6:7], v[12:13], off
	global_wb scope:SCOPE_SYS
	s_wait_storecnt 0x0
	s_wait_xcnt 0x0
	global_atomic_cmpswap_b64 v[4:5], v8, v[10:13], s[2:3] offset:24 th:TH_ATOMIC_RETURN scope:SCOPE_SYS
	s_wait_loadcnt 0x0
	v_cmp_ne_u64_e32 vcc_lo, v[4:5], v[12:13]
	s_and_b32 exec_lo, exec_lo, vcc_lo
	s_cbranch_execz .LBB1_390
; %bb.388:
	s_mov_b32 s4, 0
.LBB1_389:                              ; =>This Inner Loop Header: Depth=1
	v_dual_mov_b32 v2, s0 :: v_dual_mov_b32 v3, s1
	s_sleep 1
	global_store_b64 v[6:7], v[4:5], off
	global_wb scope:SCOPE_SYS
	s_wait_storecnt 0x0
	s_wait_xcnt 0x0
	global_atomic_cmpswap_b64 v[2:3], v8, v[2:5], s[2:3] offset:24 th:TH_ATOMIC_RETURN scope:SCOPE_SYS
	s_wait_loadcnt 0x0
	v_cmp_eq_u64_e32 vcc_lo, v[2:3], v[4:5]
	v_mov_b64_e32 v[4:5], v[2:3]
	s_or_b32 s4, vcc_lo, s4
	s_delay_alu instid0(SALU_CYCLE_1)
	s_and_not1_b32 exec_lo, exec_lo, s4
	s_cbranch_execnz .LBB1_389
.LBB1_390:
	s_or_b32 exec_lo, exec_lo, s7
.LBB1_391:
	s_delay_alu instid0(SALU_CYCLE_1)
	s_or_b32 exec_lo, exec_lo, s6
	s_get_pc_i64 s[0:1]
	s_add_nc_u64 s[0:1], s[0:1], .str.3@rel64+4
	s_get_pc_i64 s[2:3]
	s_add_nc_u64 s[2:3], s[2:3], .str.3@rel64+32
	v_dual_mov_b32 v2, s0 :: v_dual_mov_b32 v3, s1
	s_sub_co_i32 s4, s2, s0
	v_mov_b32_e32 v6, 1
	s_ashr_i32 s5, s4, 31
	s_delay_alu instid0(SALU_CYCLE_1) | instskip(SKIP_2) | instid1(SALU_CYCLE_1)
	v_dual_mov_b32 v4, s4 :: v_dual_mov_b32 v5, s5
	s_get_pc_i64 s[2:3]
	s_add_nc_u64 s[2:3], s[2:3], __ockl_fprintf_append_string_n@rel64+4
	s_swap_pc_i64 s[30:31], s[2:3]
	s_trap 2
.Lfunc_end1:
	.size	__assert_fail, .Lfunc_end1-__assert_fail
                                        ; -- End function
	.set .L__assert_fail.num_vgpr, max(49, .L__ockl_fprintf_append_string_n.num_vgpr)
	.set .L__assert_fail.num_agpr, max(0, .L__ockl_fprintf_append_string_n.num_agpr)
	.set .L__assert_fail.numbered_sgpr, max(34, .L__ockl_fprintf_append_string_n.numbered_sgpr)
	.set .L__assert_fail.num_named_barrier, max(0, .L__ockl_fprintf_append_string_n.num_named_barrier)
	.set .L__assert_fail.private_seg_size, 64+max(.L__ockl_fprintf_append_string_n.private_seg_size)
	.set .L__assert_fail.uses_vcc, or(1, .L__ockl_fprintf_append_string_n.uses_vcc)
	.set .L__assert_fail.uses_flat_scratch, or(1, .L__ockl_fprintf_append_string_n.uses_flat_scratch)
	.set .L__assert_fail.has_dyn_sized_stack, or(0, .L__ockl_fprintf_append_string_n.has_dyn_sized_stack)
	.set .L__assert_fail.has_recursion, or(0, .L__ockl_fprintf_append_string_n.has_recursion)
	.set .L__assert_fail.has_indirect_call, or(0, .L__ockl_fprintf_append_string_n.has_indirect_call)
	.section	.AMDGPU.csdata,"",@progbits
; Function info:
; codeLenInByte = 15740
; TotalNumSgprs: 36
; NumVgprs: 49
; ScratchSize: 64
; MemoryBound: 0
	.text
	.p2align	2                               ; -- Begin function _ZN12_GLOBAL__N_17runRingIj14FuncSumPostDivIjE11ProtoSimpleILi2ELi2ELi0ELi1ELi0ELi0EELi0ELi0ELi1ELi0EEEviiP15ncclDevWorkColl
	.type	_ZN12_GLOBAL__N_17runRingIj14FuncSumPostDivIjE11ProtoSimpleILi2ELi2ELi0ELi1ELi0ELi0EELi0ELi0ELi1ELi0EEEviiP15ncclDevWorkColl,@function
_ZN12_GLOBAL__N_17runRingIj14FuncSumPostDivIjE11ProtoSimpleILi2ELi2ELi0ELi1ELi0ELi0EELi0ELi0ELi1ELi0EEEviiP15ncclDevWorkColl: ; @_ZN12_GLOBAL__N_17runRingIj14FuncSumPostDivIjE11ProtoSimpleILi2ELi2ELi0ELi1ELi0ELi0EELi0ELi0ELi1ELi0EEEviiP15ncclDevWorkColl
; %bb.0:
	s_wait_loadcnt_dscnt 0x0
	s_wait_kmcnt 0x0
	s_mov_b32 s79, s33
	s_mov_b32 s33, s32
	s_or_saveexec_b32 s0, -1
	scratch_store_b32 off, v108, s33 offset:144 ; 4-byte Folded Spill
	s_wait_xcnt 0x0
	s_mov_b32 exec_lo, s0
	s_addk_co_i32 s32, 0xa0
	s_clause 0x23
	scratch_store_b32 off, v40, s33 offset:140
	; meta instruction
	scratch_store_b32 off, v41, s33 offset:136
	; meta instruction
	;; [unrolled: 2-line block ×35, first 2 shown]
	scratch_store_b32 off, v107, s33
	v_writelane_b32 v108, s30, 0
	v_writelane_b32 v108, s31, 1
	s_trap 2
	flat_load_b32 v7, v[2:3]
	ds_load_b32 v6, v0
	s_mov_b32 s0, exec_lo
                                        ; implicit-def: $vgpr32_vgpr33
                                        ; implicit-def: $vgpr14_vgpr15
                                        ; implicit-def: $vgpr4_vgpr5
	s_wait_dscnt 0x0
	v_readfirstlane_b32 s18, v6
	s_wait_loadcnt 0x0
	v_and_b32_e32 v8, 0xff, v7
	s_wait_xcnt 0x0
	s_delay_alu instid0(VALU_DEP_1)
	v_cmpx_ne_u32_e64 v6, v8
	s_xor_b32 s0, exec_lo, s0
	s_cbranch_execz .LBB2_6
; %bb.1:
	v_bfe_u32 v9, v7, 8, 8
	v_not_b32_e32 v8, v8
	s_mov_b32 s1, exec_lo
                                        ; implicit-def: $vgpr32_vgpr33
                                        ; implicit-def: $vgpr14_vgpr15
                                        ; implicit-def: $vgpr4_vgpr5
	s_delay_alu instid0(VALU_DEP_2)
	v_cmpx_ne_u32_e64 v6, v9
	s_xor_b32 s1, exec_lo, s1
	s_cbranch_execz .LBB2_3
; %bb.2:
	s_clause 0x1
	flat_load_b128 v[10:13], v[2:3] offset:72
	flat_load_b64 v[4:5], v[2:3] offset:96
	v_add_nc_u32_e32 v6, v6, v8
                                        ; implicit-def: $vgpr9
                                        ; implicit-def: $vgpr8
	s_wait_loadcnt_dscnt 0x101
	s_delay_alu instid0(VALU_DEP_1) | instskip(SKIP_3) | instid1(VALU_DEP_3)
	v_mad_nc_u64_u32 v[14:15], v12, v6, v[10:11]
	s_wait_loadcnt_dscnt 0x0
	v_lshrrev_b64 v[32:33], 14, v[4:5]
	v_mov_b64_e32 v[4:5], v[12:13]
	v_mad_u32 v7, v13, v6, v15
	v_ashrrev_i32_e32 v6, 31, v6
	s_delay_alu instid0(VALU_DEP_1)
	v_mad_u32 v15, v12, v6, v7
.LBB2_3:
	s_wait_xcnt 0x0
	s_and_not1_saveexec_b32 s1, s1
	s_cbranch_execz .LBB2_5
; %bb.4:
	s_clause 0x1
	flat_load_b128 v[10:13], v[2:3] offset:72
	flat_load_b128 v[4:7], v[2:3] offset:88
	s_wait_loadcnt_dscnt 0x0
	v_dual_add_nc_u32 v6, v9, v8 :: v_dual_lshrrev_b32 v32, 3, v7
	s_delay_alu instid0(VALU_DEP_1) | instskip(NEXT) | instid1(VALU_DEP_1)
	v_mad_nc_u64_u32 v[14:15], v12, v6, v[10:11]
	v_mad_u32 v8, v13, v6, v15
	v_ashrrev_i32_e32 v6, 31, v6
	s_delay_alu instid0(VALU_DEP_1)
	v_mad_u32 v15, v12, v6, v8
.LBB2_5:
	s_wait_xcnt 0x0
	s_or_b32 exec_lo, exec_lo, s1
.LBB2_6:
	s_and_not1_saveexec_b32 s0, s0
	s_cbranch_execz .LBB2_8
; %bb.7:
	s_clause 0x1
	flat_load_b64 v[6:7], v[2:3] offset:96
	flat_load_b64 v[4:5], v[2:3] offset:72
	v_mov_b64_e32 v[14:15], 0
	s_wait_loadcnt_dscnt 0x101
	v_lshlrev_b64_e32 v[32:33], 7, v[6:7]
.LBB2_8:
	s_wait_xcnt 0x0
	s_or_b32 exec_lo, exec_lo, s0
	s_trap 2
	ds_load_b64 v[6:7], v0
	s_mov_b32 s1, 0
	s_mov_b32 s2, exec_lo
	s_wait_dscnt 0x0
	v_cmp_ne_u32_e32 vcc_lo, -1, v6
	v_cndmask_b32_e64 v37, 0, 1, vcc_lo
	v_cmp_ne_u32_e32 vcc_lo, -1, v7
	s_delay_alu instid0(VALU_DEP_2) | instskip(NEXT) | instid1(VALU_DEP_1)
	v_add_co_ci_u32_e64 v8, null, 0, v37, vcc_lo
	v_lshlrev_b32_e32 v6, 1, v8
	s_delay_alu instid0(VALU_DEP_1)
	v_cmpx_le_u32_e64 v6, v1
	s_xor_b32 s42, exec_lo, s2
	s_cbranch_execz .LBB2_1252
; %bb.9:
	s_clause 0x3
	flat_load_b128 v[10:13], v[2:3] offset:16
	flat_load_b64 v[34:35], v[2:3] offset:104
	flat_load_u16 v7, v[2:3] offset:8
	flat_load_b32 v6, v[2:3] offset:4
	s_trap 2
	s_load_b32 s0, s[8:9], 0x0
	s_bfe_u32 s2, ttmp6, 0x4000c
	s_and_b32 s3, ttmp6, 15
	s_add_co_i32 s2, s2, 1
	s_getreg_b32 s4, hwreg(HW_REG_IB_STS2, 6, 4)
	s_mul_i32 s2, ttmp9, s2
	v_dual_mov_b32 v9, 0 :: v_dual_mov_b32 v30, 4
	s_add_co_i32 s3, s3, s2
	s_cmp_eq_u32 s4, 0
	s_cselect_b32 s2, ttmp9, s3
	s_wait_kmcnt 0x0
	s_cmp_lt_u32 s2, s0
	s_cselect_b32 s0, 12, 18
	s_delay_alu instid0(SALU_CYCLE_1)
	s_add_nc_u64 s[0:1], s[8:9], s[0:1]
	global_load_u16 v23, v9, s[0:1]
	s_wait_xcnt 0x0
	ds_load_b32 v9, v0
	s_mov_b32 s1, exec_lo
	s_wait_dscnt 0x0
	v_readfirstlane_b32 s6, v9
	v_cmpx_ge_u32_e64 v0, v37
	s_cbranch_execz .LBB2_19
; %bb.10:
	v_cmp_ge_u32_e64 s0, v0, v8
                                        ; implicit-def: $vgpr30
	s_and_saveexec_b32 s2, s0
	s_delay_alu instid0(SALU_CYCLE_1)
	s_xor_b32 s0, exec_lo, s2
	s_cbranch_execz .LBB2_16
; %bb.11:
	v_cndmask_b32_e64 v9, 0, 1, vcc_lo
	s_mov_b32 s2, exec_lo
	s_delay_alu instid0(VALU_DEP_1) | instskip(NEXT) | instid1(VALU_DEP_1)
	v_sub_nc_u32_e32 v9, v1, v9
	v_cmpx_ge_u32_e64 v0, v9
	s_xor_b32 s2, exec_lo, s2
; %bb.12:
                                        ; implicit-def: $vgpr8
; %bb.13:
	s_delay_alu instid0(SALU_CYCLE_1)
	s_or_saveexec_b32 s2, s2
	v_mov_b32_e32 v30, 16
	s_xor_b32 exec_lo, exec_lo, s2
; %bb.14:
	v_sub_nc_u32_e32 v8, v1, v8
	s_delay_alu instid0(VALU_DEP_1)
	v_cmp_lt_i32_e32 vcc_lo, v0, v8
	v_cndmask_b32_e64 v30, 32, 0, vcc_lo
; %bb.15:
	s_or_b32 exec_lo, exec_lo, s2
.LBB2_16:
	s_and_not1_saveexec_b32 s0, s0
; %bb.17:
	v_mov_b32_e32 v30, 8
; %bb.18:
	s_or_b32 exec_lo, exec_lo, s0
.LBB2_19:
	s_delay_alu instid0(SALU_CYCLE_1) | instskip(NEXT) | instid1(VALU_DEP_1)
	s_or_b32 exec_lo, exec_lo, s1
	v_dual_mov_b32 v33, -1 :: v_dual_bitop2_b32 v8, 36, v30 bitop3:0x40
	s_delay_alu instid0(VALU_DEP_1)
	v_cmp_ne_u32_e32 vcc_lo, 0, v8
	s_and_saveexec_b32 s0, vcc_lo
	s_cbranch_execz .LBB2_21
; %bb.20:
	s_trap 2
	ds_load_b32 v33, v0
.LBB2_21:
	s_or_b32 exec_lo, exec_lo, s0
	v_and_b32_e32 v8, 24, v30
	s_mov_b32 s1, exec_lo
	s_delay_alu instid0(VALU_DEP_1)
	v_cmpx_ne_u32_e32 0, v8
	s_cbranch_execz .LBB2_23
; %bb.22:
	s_trap 2
	s_wait_dscnt 0x0
	ds_load_b32 v33, v0
.LBB2_23:
	s_or_b32 exec_lo, exec_lo, s1
	s_wait_loadcnt 0x1
	v_lshrrev_b64 v[6:7], 31, v[6:7]
	v_mov_b64_e32 v[18:19], 0
                                        ; implicit-def: $vgpr16_vgpr17
                                        ; implicit-def: $vgpr22
                                        ; implicit-def: $vgpr86_vgpr87
                                        ; implicit-def: $vgpr24_vgpr25
                                        ; implicit-def: $vgpr28_vgpr29
                                        ; implicit-def: $vgpr20_vgpr21
	s_delay_alu instid0(VALU_DEP_2) | instskip(SKIP_1) | instid1(VALU_DEP_2)
	v_and_b32_e32 v8, 3, v6
	v_mov_b64_e32 v[6:7], 0
	v_and_b32_e32 v36, 0xffff, v8
	s_and_saveexec_b32 s0, vcc_lo
	s_cbranch_execz .LBB2_33
; %bb.24:
	s_trap 2
	ds_load_b64 v[6:7], v0
	s_mov_b32 s1, exec_lo
                                        ; implicit-def: $vgpr16_vgpr17
	s_wait_dscnt 0x0
	v_readfirstlane_b32 s2, v6
	v_readfirstlane_b32 s3, v7
	flat_load_b64 v[6:7], v33, s[2:3] scale_offset
	s_wait_loadcnt_dscnt 0x0
	v_mad_nc_u64_u32 v[8:9], 0xa8, v36, v[6:7]
	flat_load_b32 v6, v[8:9] offset:640
	s_wait_loadcnt_dscnt 0x0
	v_cmpx_eq_u32_e32 1, v6
	s_cbranch_execz .LBB2_26
; %bb.25:
	flat_load_b64 v[16:17], v[8:9] offset:648
	v_or_b32_e32 v30, 0x2000, v30
	s_wait_loadcnt_dscnt 0x0
	flat_load_b64 v[6:7], v[16:17]
	s_trap 2
	s_wait_loadcnt_dscnt 0x0
	ds_store_b64 v0, v[6:7]
	flat_load_b64 v[6:7], v[16:17] offset:8
	s_wait_loadcnt_dscnt 0x0
	ds_store_b64 v0, v[6:7]
	flat_load_b64 v[6:7], v[16:17] offset:16
	s_wait_loadcnt_dscnt 0x0
	ds_store_b64 v0, v[6:7]
.LBB2_26:
	s_wait_xcnt 0x0
	s_or_b32 exec_lo, exec_lo, s1
	flat_load_b64 v[6:7], v[8:9] offset:608
	s_mov_b32 s1, exec_lo
                                        ; implicit-def: $vgpr20_vgpr21
	s_wait_loadcnt_dscnt 0x0
	v_add_nc_u64_e32 v[86:87], 3, v[6:7]
	v_and_b32_e32 v6, 32, v30
	s_delay_alu instid0(VALU_DEP_2) | instskip(SKIP_1) | instid1(VALU_DEP_2)
	v_and_b32_e32 v86, -4, v86
	s_wait_xcnt 0x0
	v_cmpx_ne_u32_e32 0, v6
	s_cbranch_execz .LBB2_28
; %bb.27:
	flat_load_b64 v[20:21], v[8:9] offset:560
	global_wb scope:SCOPE_SYS
	s_wait_storecnt 0x0
	s_wait_xcnt 0x0
	s_wait_loadcnt_dscnt 0x0
	flat_store_b64 v[20:21], v[86:87] scope:SCOPE_SYS
.LBB2_28:
	s_wait_xcnt 0x0
	s_or_b32 exec_lo, exec_lo, s1
	v_and_b32_e32 v22, 4, v30
	v_add_nc_u64_e32 v[18:19], 0x1f8, v[8:9]
	v_mov_b64_e32 v[6:7], 0
                                        ; implicit-def: $vgpr24_vgpr25
                                        ; implicit-def: $vgpr28_vgpr29
	s_delay_alu instid0(VALU_DEP_3)
	v_cmp_ne_u32_e32 vcc_lo, 0, v22
                                        ; implicit-def: $vgpr22
	s_and_saveexec_b32 s1, vcc_lo
	s_cbranch_execz .LBB2_32
; %bb.29:
	v_and_b32_e32 v6, 0x800, v30
	s_mov_b32 s2, exec_lo
	s_delay_alu instid0(VALU_DEP_1)
	v_cmpx_eq_u32_e32 0, v6
	s_cbranch_execz .LBB2_31
; %bb.30:
	s_trap 2
	ds_store_b64 v0, v[18:19]
.LBB2_31:
	s_or_b32 exec_lo, exec_lo, s2
	flat_load_b64 v[20:21], v[8:9] offset:552
	s_wait_loadcnt_dscnt 0x0
	flat_load_b64 v[28:29], v[20:21] scope:SCOPE_SYS
	s_clause 0x2
	flat_load_b32 v22, v[8:9] offset:576
	flat_load_b64 v[6:7], v[8:9] offset:600
	flat_load_b64 v[24:25], v[8:9] offset:520
	s_wait_xcnt 0x0
	v_or_b32_e32 v8, 0x100, v30
	s_wait_loadcnt_dscnt 0x202
	v_ashrrev_i32_e32 v22, 2, v22
	s_wait_loadcnt_dscnt 0x101
	v_cmp_eq_u64_e32 vcc_lo, 0, v[6:7]
	v_cndmask_b32_e32 v30, v8, v30, vcc_lo
.LBB2_32:
	s_or_b32 exec_lo, exec_lo, s1
.LBB2_33:
	s_delay_alu instid0(SALU_CYCLE_1) | instskip(NEXT) | instid1(VALU_DEP_1)
	s_or_b32 exec_lo, exec_lo, s0
	v_and_b32_e32 v8, 24, v30
	s_mov_b32 s0, exec_lo
                                        ; implicit-def: $vgpr26_vgpr27
	s_delay_alu instid0(VALU_DEP_1)
	v_cmpx_ne_u32_e32 0, v8
	s_cbranch_execz .LBB2_41
; %bb.34:
	s_trap 2
	ds_load_b64 v[6:7], v0
	v_or_b32_e32 v26, 0x100, v30
	s_wait_dscnt 0x0
	v_readfirstlane_b32 s2, v6
	v_readfirstlane_b32 s3, v7
	flat_load_b64 v[6:7], v33, s[2:3] scale_offset
	s_wait_loadcnt_dscnt 0x0
	v_mad_nc_u64_u32 v[18:19], 0xa8, v36, v[6:7]
	flat_load_b128 v[6:9], v[18:19] offset:96
	s_wait_loadcnt_dscnt 0x0
	v_cmp_eq_u64_e32 vcc_lo, 0, v[6:7]
	v_cndmask_b32_e32 v30, v26, v30, vcc_lo
	s_delay_alu instid0(VALU_DEP_1) | instskip(NEXT) | instid1(VALU_DEP_1)
	v_and_b32_e32 v26, 16, v30
	v_cmp_ne_u32_e32 vcc_lo, 0, v26
                                        ; implicit-def: $vgpr26_vgpr27
	s_wait_xcnt 0x0
	s_and_saveexec_b32 s1, vcc_lo
	s_cbranch_execz .LBB2_36
; %bb.35:
	s_clause 0x2
	flat_load_b64 v[20:21], v[18:19] offset:48
	flat_load_b64 v[26:27], v[18:19] offset:120
	;; [unrolled: 1-line block ×3, first 2 shown]
.LBB2_36:
	s_wait_xcnt 0x0
	s_or_b32 exec_lo, exec_lo, s1
	v_add_nc_u64_e32 v[86:87], 3, v[8:9]
	v_and_b32_e32 v8, 8, v30
	s_mov_b32 s1, exec_lo
	s_delay_alu instid0(VALU_DEP_2) | instskip(NEXT) | instid1(VALU_DEP_2)
	v_and_b32_e32 v86, -4, v86
	v_cmpx_ne_u32_e32 0, v8
	s_cbranch_execz .LBB2_40
; %bb.37:
	v_and_b32_e32 v8, 0x800, v30
	s_mov_b32 s2, exec_lo
	s_delay_alu instid0(VALU_DEP_1)
	v_cmpx_eq_u32_e32 0, v8
	s_cbranch_execz .LBB2_39
; %bb.38:
	s_trap 2
	ds_store_b64 v0, v[18:19]
.LBB2_39:
	s_or_b32 exec_lo, exec_lo, s2
	s_wait_loadcnt_dscnt 0x202
	flat_load_b64 v[20:21], v[18:19] offset:56
	s_wait_loadcnt_dscnt 0x0
	flat_load_b64 v[28:29], v[20:21] scope:SCOPE_SYS
	s_clause 0x1
	flat_load_b32 v8, v[18:19] offset:72
	flat_load_b64 v[24:25], v[18:19] offset:16
	s_wait_loadcnt_dscnt 0x101
	v_ashrrev_i32_e32 v22, 2, v8
.LBB2_40:
	s_wait_xcnt 0x0
	s_or_b32 exec_lo, exec_lo, s1
.LBB2_41:
	s_delay_alu instid0(SALU_CYCLE_1)
	s_or_b32 exec_lo, exec_lo, s0
	v_cmp_eq_u32_e64 s0, 0, v0
	s_and_saveexec_b32 s1, s0
	s_cbranch_execz .LBB2_43
; %bb.42:
	flat_load_b64 v[8:9], v[2:3] offset:32
	ds_store_2addr_b64 v0, v[12:13], v[10:11] offset1:1
	s_trap 2
	s_wait_loadcnt_dscnt 0x1
	ds_store_b64 v0, v[8:9]
	ds_store_b64 v0, v[34:35]
.LBB2_43:
	s_wait_xcnt 0x0
	s_or_b32 exec_lo, exec_lo, s1
	v_mov_b64_e32 v[12:13], 0
	s_wait_loadcnt 0x0
	v_and_b32_e32 v56, 0xffff, v23
	s_mov_b32 s43, exec_lo
	v_cmpx_lt_i64_e32 0, v[4:5]
	s_cbranch_execz .LBB2_1218
; %bb.44:
	flat_load_b32 v3, v[2:3] offset:4
	s_wait_xcnt 0x0
	v_dual_mov_b32 v2, 0 :: v_dual_bitop2_b32 v8, 31, v31 bitop3:0x40
	v_and_b32_e32 v84, 0xfffff80, v32
	s_ashr_i32 s19, s18, 31
	v_dual_ashrrev_i32 v23, 31, v22 :: v_dual_lshrrev_b32 v32, 5, v1
	s_wait_dscnt 0x1
	v_dual_mov_b32 v85, v2 :: v_dual_mov_b32 v33, v2
	s_ashr_i32 s7, s6, 31
	v_dual_lshlrev_b32 v9, 2, v1 :: v_dual_lshlrev_b32 v36, 4, v0
	s_delay_alu instid0(VALU_DEP_2)
	v_mul_u64_e32 v[64:65], s[18:19], v[84:85]
	s_lshr_b32 s7, s7, 29
	v_dual_mov_b32 v51, v2 :: v_dual_lshlrev_b32 v50, 9, v32
	s_add_co_i32 s13, s6, s7
	s_add_co_i32 s44, s18, s18
	s_not_b32 s12, s18
	v_and_b32_e32 v54, 0x7f80, v9
	s_ashr_i32 s14, s13, 5
	s_cmp_gt_i32 s18, 0
	v_dual_mov_b32 v67, v2 :: v_dual_add_nc_u32 v68, 0xfffffe00, v50
	s_cselect_b32 s12, s12, -1
	s_ashr_i32 s13, s13, 31
	v_add_nc_u32_e32 v70, 0xffffff80, v54
	s_lshr_b32 s13, s13, 28
	v_dual_lshrrev_b32 v58, 5, v0 :: v_dual_bitop2_b32 v57, 31, v0 bitop3:0x40
	s_add_co_i32 s26, s12, s44
	s_add_co_i32 s14, s14, s13
	s_ashr_i32 s27, s26, 31
	s_ashr_i32 s45, s14, 4
	s_cmp_gt_i32 s18, 2
	v_ashrrev_i32_e32 v71, 31, v70
	v_mov_b32_e32 v61, 0x88
	v_cmp_eq_u32_e64 s6, 0, v8
	v_lshlrev_b32_e32 v8, 4, v57
	s_cselect_b32 s46, -1, 0
	s_add_co_i32 s13, s18, 1
	v_cmp_ge_u32_e32 vcc_lo, v0, v1
	v_mov_b64_e32 v[34:35], 0
	v_cmp_eq_u64_e64 s4, 0, v[26:27]
	v_cmp_ne_u64_e64 s5, 0, v[26:27]
	v_mov_b64_e32 v[38:39], 0
	v_mov_b64_e32 v[12:13], 0
	v_add_nc_u64_e32 v[82:83], 0x80, v[70:71]
	v_cmp_eq_u32_e64 s1, 32, v1
	v_cmp_ne_u32_e64 s2, 32, v1
	v_cmp_ne_u32_e64 s3, v1, v56
	v_dual_mov_b32 v59, 1 :: v_dual_mov_b32 v60, 0x90
	v_cmp_eq_u32_e64 s7, 0, v57
	v_cmp_lt_u32_e64 s10, v57, v37
	v_dual_mov_b32 v49, v2 :: v_dual_lshlrev_b32 v48, 10, v32
	v_dual_mov_b32 v53, v2 :: v_dual_lshlrev_b32 v52, 8, v32
	v_mov_b32_e32 v55, v2
	v_cmp_le_u32_e64 s11, v57, v37
	v_mov_b32_e32 v37, v2
	v_lshl_or_b32 v66, v58, 10, v8
	s_mov_b32 s21, 0
	s_mov_b64 s[22:23], 0xffffffff
	s_add_nc_u64 s[24:25], s[18:19], -1
	s_mov_b32 s59, 0
	s_trap 2
	v_ashrrev_i32_e32 v69, 31, v68
	s_delay_alu instid0(VALU_DEP_1) | instskip(SKIP_2) | instid1(VALU_DEP_1)
	v_add_nc_u64_e32 v[80:81], 0x200, v[68:69]
	s_wait_loadcnt_dscnt 0x0
	v_and_b32_e32 v3, 1, v3
	v_cmp_eq_u32_e64 s12, 1, v3
	s_xor_b32 s47, s12, -1
	s_cmp_ge_i32 s13, s18
	s_cselect_b32 s14, s18, 0
	s_add_co_i32 s56, s18, -2
	s_sub_co_i32 s40, s13, s14
	s_xor_b32 s57, vcc_lo, -1
	s_ashr_i32 s28, s19, 31
	s_sub_co_i32 s58, 0, s18
	s_ashr_i32 s41, s40, 31
	s_branch .LBB2_47
.LBB2_45:                               ;   in Loop: Header=BB2_47 Depth=1
	s_or_b32 exec_lo, exec_lo, s15
.LBB2_46:                               ;   in Loop: Header=BB2_47 Depth=1
	s_delay_alu instid0(SALU_CYCLE_1) | instskip(SKIP_1) | instid1(VALU_DEP_1)
	s_or_b32 exec_lo, exec_lo, s14
	v_add_nc_u64_e32 v[38:39], v[38:39], v[64:65]
	v_cmp_ge_i64_e32 vcc_lo, v[38:39], v[4:5]
	s_or_b32 s59, vcc_lo, s59
	s_delay_alu instid0(SALU_CYCLE_1)
	s_and_not1_b32 exec_lo, exec_lo, s59
	s_cbranch_execz .LBB2_1217
.LBB2_47:                               ; =>This Loop Header: Depth=1
                                        ;     Child Loop BB2_57 Depth 2
                                        ;       Child Loop BB2_65 Depth 3
                                        ;       Child Loop BB2_89 Depth 3
	;; [unrolled: 1-line block ×9, first 2 shown]
                                        ;     Child Loop BB2_199 Depth 2
                                        ;       Child Loop BB2_205 Depth 3
                                        ;       Child Loop BB2_229 Depth 3
                                        ;       Child Loop BB2_254 Depth 3
                                        ;     Child Loop BB2_273 Depth 2
                                        ;       Child Loop BB2_276 Depth 3
                                        ;         Child Loop BB2_284 Depth 4
                                        ;         Child Loop BB2_312 Depth 4
	;; [unrolled: 1-line block ×9, first 2 shown]
                                        ;       Child Loop BB2_420 Depth 3
                                        ;         Child Loop BB2_426 Depth 4
                                        ;         Child Loop BB2_454 Depth 4
	;; [unrolled: 1-line block ×3, first 2 shown]
                                        ;     Child Loop BB2_495 Depth 2
                                        ;       Child Loop BB2_503 Depth 3
                                        ;       Child Loop BB2_531 Depth 3
	;; [unrolled: 1-line block ×4, first 2 shown]
                                        ;         Child Loop BB2_573 Depth 4
                                        ;       Child Loop BB2_579 Depth 3
                                        ;         Child Loop BB2_580 Depth 4
                                        ;       Child Loop BB2_590 Depth 3
                                        ;       Child Loop BB2_595 Depth 3
                                        ;         Child Loop BB2_596 Depth 4
                                        ;       Child Loop BB2_608 Depth 3
                                        ;       Child Loop BB2_613 Depth 3
	;; [unrolled: 1-line block ×6, first 2 shown]
                                        ;     Child Loop BB2_678 Depth 2
                                        ;       Child Loop BB2_684 Depth 3
                                        ;       Child Loop BB2_712 Depth 3
	;; [unrolled: 1-line block ×3, first 2 shown]
                                        ;     Child Loop BB2_753 Depth 2
                                        ;       Child Loop BB2_756 Depth 3
                                        ;         Child Loop BB2_764 Depth 4
                                        ;         Child Loop BB2_792 Depth 4
	;; [unrolled: 1-line block ×4, first 2 shown]
                                        ;           Child Loop BB2_835 Depth 5
                                        ;         Child Loop BB2_841 Depth 4
                                        ;           Child Loop BB2_842 Depth 5
                                        ;         Child Loop BB2_849 Depth 4
                                        ;         Child Loop BB2_854 Depth 4
                                        ;           Child Loop BB2_855 Depth 5
                                        ;         Child Loop BB2_867 Depth 4
                                        ;         Child Loop BB2_872 Depth 4
	;; [unrolled: 1-line block ×6, first 2 shown]
                                        ;       Child Loop BB2_935 Depth 3
                                        ;         Child Loop BB2_941 Depth 4
                                        ;         Child Loop BB2_969 Depth 4
	;; [unrolled: 1-line block ×3, first 2 shown]
                                        ;     Child Loop BB2_1013 Depth 2
                                        ;       Child Loop BB2_1021 Depth 3
                                        ;       Child Loop BB2_1045 Depth 3
	;; [unrolled: 1-line block ×9, first 2 shown]
                                        ;     Child Loop BB2_1151 Depth 2
                                        ;       Child Loop BB2_1157 Depth 3
                                        ;       Child Loop BB2_1181 Depth 3
	;; [unrolled: 1-line block ×3, first 2 shown]
	v_sub_nc_u64_e32 v[96:97], v[4:5], v[38:39]
	s_mov_b32 s16, exec_lo
	s_delay_alu instid0(VALU_DEP_1)
	v_cmpx_lt_i64_e64 v[96:97], v[64:65]
	s_cbranch_execz .LBB2_53
; %bb.48:                               ;   in Loop: Header=BB2_47 Depth=1
	v_add_nc_u64_e32 v[8:9], s[24:25], v[96:97]
                                        ; implicit-def: $vgpr10_vgpr11
	s_mov_b32 s13, exec_lo
	s_delay_alu instid0(VALU_DEP_1) | instskip(NEXT) | instid1(VALU_DEP_1)
	v_or_b32_e32 v3, s19, v9
	v_cmpx_ne_u64_e32 0, v[2:3]
	s_xor_b32 s17, exec_lo, s13
	s_cbranch_execz .LBB2_50
; %bb.49:                               ;   in Loop: Header=BB2_47 Depth=1
	s_mov_b32 s29, s28
	v_dual_mov_b32 v85, v2 :: v_dual_ashrrev_i32 v10, 31, v9
	s_add_nc_u64 s[14:15], s[18:19], s[28:29]
	s_delay_alu instid0(SALU_CYCLE_1) | instskip(NEXT) | instid1(VALU_DEP_1)
	s_xor_b64 s[14:15], s[14:15], s[28:29]
	v_mov_b32_e32 v11, v10
	s_cvt_f32_u32 s13, s14
	s_cvt_f32_u32 s20, s15
	s_sub_nc_u64 s[62:63], 0, s[14:15]
	s_delay_alu instid0(VALU_DEP_1) | instskip(NEXT) | instid1(SALU_CYCLE_1)
	v_add_nc_u64_e32 v[8:9], v[8:9], v[10:11]
	s_fmamk_f32 s13, s20, 0x4f800000, s13
	v_mov_b32_e32 v101, v2
	s_delay_alu instid0(SALU_CYCLE_2) | instskip(NEXT) | instid1(VALU_DEP_2)
	v_s_rcp_f32 s13, s13
	v_xor_b32_e32 v84, v8, v10
	s_delay_alu instid0(VALU_DEP_3) | instskip(NEXT) | instid1(TRANS32_DEP_1)
	v_dual_mov_b32 v113, v2 :: v_dual_bitop2_b32 v100, v9, v10 bitop3:0x14
	s_mul_f32 s13, s13, 0x5f7ffffc
	s_delay_alu instid0(SALU_CYCLE_3) | instskip(NEXT) | instid1(SALU_CYCLE_3)
	s_mul_f32 s20, s13, 0x2f800000
	s_trunc_f32 s20, s20
	s_delay_alu instid0(SALU_CYCLE_3) | instskip(SKIP_1) | instid1(SALU_CYCLE_2)
	s_fmamk_f32 s13, s20, 0xcf800000, s13
	s_cvt_u32_f32 s61, s20
	s_cvt_u32_f32 s60, s13
	s_delay_alu instid0(SALU_CYCLE_3) | instskip(NEXT) | instid1(SALU_CYCLE_1)
	s_mul_u64 s[72:73], s[62:63], s[60:61]
	s_mul_hi_u32 s75, s60, s73
	s_mul_i32 s74, s60, s73
	s_mul_hi_u32 s20, s60, s72
	s_mul_i32 s29, s61, s72
	s_add_nc_u64 s[74:75], s[20:21], s[74:75]
	s_mul_hi_u32 s13, s61, s72
	s_mul_hi_u32 s76, s61, s73
	s_add_co_u32 s20, s74, s29
	s_add_co_ci_u32 s20, s75, s13
	s_mul_i32 s72, s61, s73
	s_add_co_ci_u32 s73, s76, 0
	s_delay_alu instid0(SALU_CYCLE_1) | instskip(NEXT) | instid1(SALU_CYCLE_1)
	s_add_nc_u64 s[72:73], s[20:21], s[72:73]
	s_add_co_u32 s60, s60, s72
	s_cselect_b32 s13, -1, 0
	s_delay_alu instid0(SALU_CYCLE_1) | instskip(SKIP_1) | instid1(SALU_CYCLE_1)
	s_cmp_lg_u32 s13, 0
	s_add_co_ci_u32 s61, s61, s73
	s_mul_u64 s[62:63], s[62:63], s[60:61]
	s_delay_alu instid0(SALU_CYCLE_1)
	s_mul_hi_u32 s73, s60, s63
	s_mul_i32 s72, s60, s63
	s_mul_hi_u32 s20, s60, s62
	s_mul_i32 s29, s61, s62
	s_add_nc_u64 s[72:73], s[20:21], s[72:73]
	s_mul_hi_u32 s13, s61, s62
	s_mul_hi_u32 s74, s61, s63
	s_add_co_u32 s20, s72, s29
	s_add_co_ci_u32 s20, s73, s13
	s_mul_i32 s62, s61, s63
	s_add_co_ci_u32 s63, s74, 0
	s_delay_alu instid0(SALU_CYCLE_1) | instskip(NEXT) | instid1(SALU_CYCLE_1)
	s_add_nc_u64 s[62:63], s[20:21], s[62:63]
	s_add_co_u32 s60, s60, s62
	s_cselect_b32 s13, -1, 0
	v_mul_hi_u32 v112, v84, s60
	s_cmp_lg_u32 s13, 0
	s_add_co_ci_u32 s20, s61, s63
	s_and_b64 s[62:63], s[60:61], s[22:23]
	v_mul_u64_e32 v[98:99], s[20:21], v[84:85]
	v_mul_u64_e32 v[8:9], s[62:63], v[100:101]
	;; [unrolled: 1-line block ×3, first 2 shown]
	s_delay_alu instid0(VALU_DEP_3) | instskip(NEXT) | instid1(VALU_DEP_1)
	v_add_nc_u64_e32 v[98:99], v[112:113], v[98:99]
	v_add_co_u32 v3, vcc_lo, v98, v8
	s_delay_alu instid0(VALU_DEP_2) | instskip(NEXT) | instid1(VALU_DEP_4)
	v_add_co_ci_u32_e32 v112, vcc_lo, v99, v9, vcc_lo
	v_add_co_ci_u32_e32 v103, vcc_lo, 0, v103, vcc_lo
	s_delay_alu instid0(VALU_DEP_1) | instskip(NEXT) | instid1(VALU_DEP_1)
	v_add_nc_u64_e32 v[8:9], v[112:113], v[102:103]
	v_mul_u64_e32 v[98:99], s[14:15], v[8:9]
	s_delay_alu instid0(VALU_DEP_1) | instskip(NEXT) | instid1(VALU_DEP_2)
	v_sub_nc_u32_e32 v3, v100, v99
	v_sub_co_u32 v11, vcc_lo, v84, v98
	s_delay_alu instid0(VALU_DEP_1) | instskip(NEXT) | instid1(VALU_DEP_3)
	v_sub_co_ci_u32_e64 v100, null, v100, v99, vcc_lo
	v_subrev_co_ci_u32_e64 v3, null, s15, v3, vcc_lo
	s_delay_alu instid0(VALU_DEP_3) | instskip(SKIP_1) | instid1(VALU_DEP_3)
	v_sub_co_u32 v84, s13, v11, s14
	v_add_nc_u64_e32 v[98:99], 1, v[8:9]
	v_subrev_co_ci_u32_e64 v3, null, 0, v3, s13
	s_delay_alu instid0(VALU_DEP_3) | instskip(SKIP_1) | instid1(VALU_DEP_3)
	v_cmp_le_u32_e32 vcc_lo, s14, v84
	v_cndmask_b32_e64 v84, 0, -1, vcc_lo
	v_cmp_le_u32_e32 vcc_lo, s15, v3
	v_cndmask_b32_e64 v85, 0, -1, vcc_lo
	v_cmp_le_u32_e32 vcc_lo, s14, v11
	v_cndmask_b32_e64 v11, 0, -1, vcc_lo
	v_cmp_le_u32_e32 vcc_lo, s15, v100
	v_cndmask_b32_e64 v101, 0, -1, vcc_lo
	v_cmp_eq_u32_e32 vcc_lo, s15, v3
	v_cndmask_b32_e32 v3, v85, v84, vcc_lo
	v_cmp_eq_u32_e32 vcc_lo, s15, v100
	v_add_nc_u64_e32 v[84:85], 2, v[8:9]
	v_cndmask_b32_e32 v11, v101, v11, vcc_lo
	s_delay_alu instid0(VALU_DEP_4) | instskip(NEXT) | instid1(VALU_DEP_3)
	v_cmp_ne_u32_e32 vcc_lo, 0, v3
	v_cndmask_b32_e32 v3, v99, v85, vcc_lo
	s_delay_alu instid0(VALU_DEP_3) | instskip(SKIP_1) | instid1(VALU_DEP_2)
	v_cmp_ne_u32_e64 s13, 0, v11
	v_dual_cndmask_b32 v11, v98, v84, vcc_lo :: v_dual_bitop2_b32 v10, s28, v10 bitop3:0x14
	v_cndmask_b32_e64 v3, v9, v3, s13
	s_delay_alu instid0(VALU_DEP_2) | instskip(NEXT) | instid1(VALU_DEP_2)
	v_dual_cndmask_b32 v8, v8, v11, s13 :: v_dual_mov_b32 v11, v10
	v_xor_b32_e32 v9, v3, v10
	s_delay_alu instid0(VALU_DEP_2) | instskip(NEXT) | instid1(VALU_DEP_1)
	v_xor_b32_e32 v8, v8, v10
	v_sub_nc_u64_e32 v[10:11], v[8:9], v[10:11]
                                        ; implicit-def: $vgpr8_vgpr9
.LBB2_50:                               ;   in Loop: Header=BB2_47 Depth=1
	s_and_not1_saveexec_b32 s13, s17
	s_cbranch_execz .LBB2_52
; %bb.51:                               ;   in Loop: Header=BB2_47 Depth=1
	v_cvt_f32_u32_e32 v3, s18
	v_mov_b32_e32 v11, v2
	s_delay_alu instid0(VALU_DEP_2) | instskip(SKIP_1) | instid1(TRANS32_DEP_1)
	v_rcp_iflag_f32_e32 v3, v3
	v_nop
	v_mul_f32_e32 v3, 0x4f7ffffe, v3
	s_delay_alu instid0(VALU_DEP_1) | instskip(NEXT) | instid1(VALU_DEP_1)
	v_cvt_u32_f32_e32 v3, v3
	v_mul_lo_u32 v9, s58, v3
	s_delay_alu instid0(VALU_DEP_1) | instskip(NEXT) | instid1(VALU_DEP_1)
	v_mul_hi_u32 v9, v3, v9
	v_add_nc_u32_e32 v3, v3, v9
	s_delay_alu instid0(VALU_DEP_1) | instskip(NEXT) | instid1(VALU_DEP_1)
	v_mul_hi_u32 v3, v8, v3
	v_mul_lo_u32 v9, v3, s18
	s_delay_alu instid0(VALU_DEP_1) | instskip(NEXT) | instid1(VALU_DEP_1)
	v_dual_sub_nc_u32 v8, v8, v9 :: v_dual_add_nc_u32 v9, 1, v3
	v_subrev_nc_u32_e32 v10, s18, v8
	v_cmp_le_u32_e32 vcc_lo, s18, v8
	s_delay_alu instid0(VALU_DEP_2) | instskip(NEXT) | instid1(VALU_DEP_1)
	v_dual_cndmask_b32 v8, v8, v10 :: v_dual_cndmask_b32 v3, v3, v9
	v_cmp_le_u32_e32 vcc_lo, s18, v8
	s_delay_alu instid0(VALU_DEP_2) | instskip(NEXT) | instid1(VALU_DEP_1)
	v_add_nc_u32_e32 v9, 1, v3
	v_cndmask_b32_e32 v10, v3, v9, vcc_lo
.LBB2_52:                               ;   in Loop: Header=BB2_47 Depth=1
	s_or_b32 exec_lo, exec_lo, s13
	s_delay_alu instid0(VALU_DEP_1) | instskip(NEXT) | instid1(VALU_DEP_1)
	v_add_nc_u64_e32 v[84:85], 3, v[10:11]
	v_and_b32_e32 v84, -4, v84
.LBB2_53:                               ;   in Loop: Header=BB2_47 Depth=1
	s_or_b32 exec_lo, exec_lo, s16
	s_delay_alu instid0(VALU_DEP_1) | instskip(SKIP_1) | instid1(VALU_DEP_2)
	v_mul_u64_e32 v[100:101], s[26:27], v[84:85]
	v_add_nc_u64_e32 v[98:99], v[38:39], v[14:15]
	v_sub_nc_u64_e32 v[8:9], v[96:97], v[100:101]
	s_delay_alu instid0(VALU_DEP_1) | instskip(NEXT) | instid1(VALU_DEP_1)
	v_min_i64 v[8:9], v[84:85], v[8:9]
	v_max_i32_e32 v3, 0, v8
	v_cmp_lt_i32_e32 vcc_lo, 0, v8
	s_delay_alu instid0(VALU_DEP_2) | instskip(SKIP_1) | instid1(VALU_DEP_1)
	v_add_nc_u32_e32 v9, 31, v3
	s_and_b32 s13, s57, vcc_lo
	v_lshrrev_b32_e32 v9, 1, v9
	s_delay_alu instid0(VALU_DEP_1) | instskip(NEXT) | instid1(VALU_DEP_1)
	v_and_b32_e32 v10, 0x3ffffff0, v9
	v_dual_mov_b32 v9, 0 :: v_dual_max_i32 v8, s45, v10
	v_mov_b32_e32 v10, 0
	s_and_saveexec_b32 s14, s13
	s_cbranch_execz .LBB2_195
; %bb.54:                               ;   in Loop: Header=BB2_47 Depth=1
	v_mov_b32_e32 v10, 0
	s_mov_b32 s17, 1
	s_mov_b32 s16, -1
	s_mov_b32 s15, 0
	s_branch .LBB2_57
.LBB2_55:                               ;   in Loop: Header=BB2_57 Depth=2
	s_wait_xcnt 0x0
	s_or_b32 exec_lo, exec_lo, s20
	v_add_nc_u64_e32 v[86:87], 2, v[86:87]
	global_wb scope:SCOPE_SYS
	s_wait_storecnt 0x0
	s_wait_loadcnt_dscnt 0x0
	flat_store_b64 v[20:21], v[86:87] scope:SCOPE_SYS
.LBB2_56:                               ;   in Loop: Header=BB2_57 Depth=2
	s_wait_xcnt 0x0
	s_or_b32 exec_lo, exec_lo, s13
	v_dual_mov_b32 v9, s17 :: v_dual_add_nc_u32 v10, v8, v10
	s_xor_b32 s13, s16, -1
	s_mov_b32 s16, 0
	s_mov_b32 s17, 2
	s_delay_alu instid0(VALU_DEP_1) | instskip(SKIP_1) | instid1(SALU_CYCLE_1)
	v_cmp_ge_i32_e32 vcc_lo, v10, v3
	s_or_b32 s13, s13, vcc_lo
	s_and_b32 s13, exec_lo, s13
	s_delay_alu instid0(SALU_CYCLE_1) | instskip(NEXT) | instid1(SALU_CYCLE_1)
	s_or_b32 s15, s13, s15
	s_and_not1_b32 exec_lo, exec_lo, s15
	s_cbranch_execz .LBB2_194
.LBB2_57:                               ;   Parent Loop BB2_47 Depth=1
                                        ; =>  This Loop Header: Depth=2
                                        ;       Child Loop BB2_65 Depth 3
                                        ;       Child Loop BB2_89 Depth 3
	;; [unrolled: 1-line block ×9, first 2 shown]
	s_and_saveexec_b32 s13, s0
	s_cbranch_execz .LBB2_59
; %bb.58:                               ;   in Loop: Header=BB2_57 Depth=2
	s_trap 2
	ds_load_b64 v[102:103], v0
	v_ashrrev_i32_e32 v11, 31, v10
	s_wait_dscnt 0x0
	v_lshl_add_u64 v[102:103], v[98:99], 2, v[102:103]
	s_delay_alu instid0(VALU_DEP_1) | instskip(NEXT) | instid1(VALU_DEP_1)
	v_lshl_add_u64 v[102:103], v[100:101], 2, v[102:103]
	v_lshl_add_u64 v[102:103], v[10:11], 2, v[102:103]
	ds_store_b64 v0, v[102:103]
	ds_store_b64 v0, v[34:35]
.LBB2_59:                               ;   in Loop: Header=BB2_57 Depth=2
	s_or_b32 exec_lo, exec_lo, s13
	v_sub_nc_u32_e32 v9, v3, v10
	v_and_b32_e32 v11, 8, v30
	s_mov_b32 s20, exec_lo
	s_delay_alu instid0(VALU_DEP_2) | instskip(NEXT) | instid1(VALU_DEP_2)
	v_min_i32_e32 v8, v8, v9
	v_cmpx_ne_u32_e32 0, v11
	s_cbranch_execz .LBB2_81
; %bb.60:                               ;   in Loop: Header=BB2_57 Depth=2
	s_wait_loadcnt_dscnt 0x1
	v_add_nc_u64_e32 v[112:113], 8, v[28:29]
	v_add_nc_u64_e32 v[102:103], 2, v[86:87]
	s_mov_b32 s29, exec_lo
	s_delay_alu instid0(VALU_DEP_1)
	v_cmpx_lt_u64_e64 v[112:113], v[102:103]
	s_cbranch_execz .LBB2_72
; %bb.61:                               ;   in Loop: Header=BB2_57 Depth=2
	v_and_b32_e32 v9, 64, v30
	s_mov_b32 s60, 0
	s_mov_b32 s72, 0
                                        ; implicit-def: $sgpr61
                                        ; implicit-def: $sgpr62
                                        ; implicit-def: $sgpr63
	s_delay_alu instid0(VALU_DEP_1)
	v_cmp_eq_u32_e32 vcc_lo, 0, v9
	s_branch .LBB2_65
.LBB2_62:                               ;   in Loop: Header=BB2_65 Depth=3
	s_wait_loadcnt_dscnt 0x0
	v_add_nc_u64_e32 v[112:113], 8, v[28:29]
	s_or_b32 s75, s75, exec_lo
	s_delay_alu instid0(VALU_DEP_1)
	v_cmp_ge_u64_e64 s13, v[112:113], v[102:103]
	s_or_not1_b32 s74, s13, exec_lo
.LBB2_63:                               ;   in Loop: Header=BB2_65 Depth=3
	s_or_b32 exec_lo, exec_lo, s77
	s_delay_alu instid0(SALU_CYCLE_1)
	s_and_not1_b32 s13, s63, exec_lo
	s_and_b32 s63, s75, exec_lo
	s_and_not1_b32 s62, s62, exec_lo
	s_and_b32 s74, s74, exec_lo
	s_or_b32 s63, s13, s63
	s_or_b32 s62, s62, s74
.LBB2_64:                               ;   in Loop: Header=BB2_65 Depth=3
	s_or_b32 exec_lo, exec_lo, s73
	s_delay_alu instid0(SALU_CYCLE_1) | instskip(NEXT) | instid1(SALU_CYCLE_1)
	s_and_b32 s13, exec_lo, s62
	s_or_b32 s60, s13, s60
	s_and_not1_b32 s13, s61, exec_lo
	s_and_b32 s61, s63, exec_lo
	s_delay_alu instid0(SALU_CYCLE_1)
	s_or_b32 s61, s13, s61
	s_and_not1_b32 exec_lo, exec_lo, s60
	s_cbranch_execz .LBB2_69
.LBB2_65:                               ;   Parent Loop BB2_47 Depth=1
                                        ;     Parent Loop BB2_57 Depth=2
                                        ; =>    This Inner Loop Header: Depth=3
	s_sleep 1
	s_wait_loadcnt_dscnt 0x0
	flat_load_b64 v[28:29], v[20:21] scope:SCOPE_SYS
	s_or_b32 s63, s63, exec_lo
	s_or_b32 s62, s62, exec_lo
                                        ; implicit-def: $vgpr9
	s_wait_xcnt 0x0
	s_and_saveexec_b32 s73, vcc_lo
	s_cbranch_execz .LBB2_64
; %bb.66:                               ;   in Loop: Header=BB2_65 Depth=3
	s_cmp_lt_i32 s72, 0x270f
	s_mov_b32 s74, -1
	s_cselect_b32 s76, -1, 0
	s_cmp_gt_i32 s72, 0x270e
	s_cbranch_scc0 .LBB2_68
; %bb.67:                               ;   in Loop: Header=BB2_65 Depth=3
	s_trap 2
	ds_load_b64 v[112:113], v0
	s_and_not1_b32 s72, s76, exec_lo
	s_mov_b32 s75, 0
	s_wait_storecnt 0x0
	s_wait_loadcnt_dscnt 0x0
	flat_load_b32 v9, v[112:113] scope:SCOPE_SYS
	s_wait_loadcnt_dscnt 0x0
	global_inv scope:SCOPE_SYS
	v_cmp_eq_u32_e64 s13, 0, v9
	s_and_b32 s13, s13, exec_lo
	s_delay_alu instid0(SALU_CYCLE_1)
	s_or_b32 s76, s72, s13
	s_mov_b32 s72, 0
	s_and_saveexec_b32 s77, s76
	s_cbranch_execz .LBB2_63
	s_branch .LBB2_62
.LBB2_68:                               ;   in Loop: Header=BB2_65 Depth=3
	s_add_co_i32 s72, s72, 1
	s_mov_b32 s75, -1
                                        ; implicit-def: $vgpr9
	s_and_saveexec_b32 s77, s76
	s_cbranch_execz .LBB2_63
	s_branch .LBB2_62
.LBB2_69:                               ;   in Loop: Header=BB2_57 Depth=2
	s_or_b32 exec_lo, exec_lo, s60
	s_xor_b32 s13, s61, -1
	s_delay_alu instid0(SALU_CYCLE_1) | instskip(NEXT) | instid1(SALU_CYCLE_1)
	s_and_saveexec_b32 s60, s13
	s_xor_b32 s13, exec_lo, s60
	s_cbranch_execz .LBB2_71
; %bb.70:                               ;   in Loop: Header=BB2_57 Depth=2
	v_or_b32_e32 v30, 64, v30
	s_wait_storecnt 0x0
	s_wait_loadcnt_dscnt 0x0
	ds_store_b32 v0, v9
	s_trap 2
.LBB2_71:                               ;   in Loop: Header=BB2_57 Depth=2
	s_or_b32 exec_lo, exec_lo, s13
.LBB2_72:                               ;   in Loop: Header=BB2_57 Depth=2
	s_delay_alu instid0(SALU_CYCLE_1) | instskip(SKIP_4) | instid1(VALU_DEP_1)
	s_or_b32 exec_lo, exec_lo, s29
	v_and_b32_e32 v9, 0x100, v30
	s_mov_b32 s29, 0
	s_mov_b32 s13, exec_lo
	;;#ASMSTART
	s_wakeup
	;;#ASMEND
                                        ; implicit-def: $vgpr112_vgpr113
                                        ; implicit-def: $vgpr114_vgpr115
	v_cmpx_ne_u32_e32 0, v9
	s_xor_b32 s13, exec_lo, s13
	s_cbranch_execz .LBB2_93
; %bb.73:                               ;   in Loop: Header=BB2_57 Depth=2
	v_dual_ashrrev_i32 v9, 31, v8 :: v_dual_bitop2_b32 v112, 7, v86 bitop3:0x40
	s_mov_b32 s29, -1
	s_mov_b32 s60, exec_lo
	s_delay_alu instid0(VALU_DEP_1) | instskip(NEXT) | instid1(VALU_DEP_2)
	v_mad_nc_u64_u32 v[86:87], v112, 24, v[6:7]
	v_lshlrev_b64_e32 v[114:115], 2, v[8:9]
	s_clause 0x1
	flat_load_b32 v11, v[86:87]
	flat_store_b64 v[86:87], v[114:115] offset:8
                                        ; implicit-def: $vgpr114_vgpr115
	s_wait_loadcnt_dscnt 0x1
	v_cmpx_eq_u32_e32 1, v11
	s_cbranch_execz .LBB2_75
; %bb.74:                               ;   in Loop: Header=BB2_57 Depth=2
	flat_load_b32 v86, v[86:87] offset:4 scope:SCOPE_SYS
	s_xor_b32 s29, exec_lo, -1
	s_wait_loadcnt_dscnt 0x0
	v_ashrrev_i32_e32 v87, 31, v86
	s_delay_alu instid0(VALU_DEP_1)
	v_lshrrev_b64 v[114:115], 2, v[86:87]
.LBB2_75:                               ;   in Loop: Header=BB2_57 Depth=2
	s_or_b32 exec_lo, exec_lo, s60
	v_mov_b32_e32 v113, v2
	s_and_b32 s29, s29, exec_lo
                                        ; implicit-def: $vgpr86_vgpr87
	s_and_not1_saveexec_b32 s13, s13
	s_cbranch_execnz .LBB2_94
.LBB2_76:                               ;   in Loop: Header=BB2_57 Depth=2
	s_or_b32 exec_lo, exec_lo, s13
	s_and_saveexec_b32 s13, s29
.LBB2_77:                               ;   in Loop: Header=BB2_57 Depth=2
	v_mul_u64_e32 v[114:115], v[112:113], v[22:23]
.LBB2_78:                               ;   in Loop: Header=BB2_57 Depth=2
	s_or_b32 exec_lo, exec_lo, s13
	v_and_b32_e32 v9, 0x2000, v30
	s_delay_alu instid0(VALU_DEP_2)
	v_lshl_add_u64 v[86:87], v[114:115], 2, v[24:25]
	s_mov_b32 s13, exec_lo
	ds_store_b64 v0, v[86:87] offset:784
	v_cmpx_ne_u32_e32 0, v9
	s_cbranch_execz .LBB2_80
; %bb.79:                               ;   in Loop: Header=BB2_57 Depth=2
	ds_load_b64 v[86:87], v0 offset:872
	s_wait_dscnt 0x0
	v_add_nc_u64_e32 v[86:87], 1, v[86:87]
	ds_store_b64 v0, v[86:87] offset:872
.LBB2_80:                               ;   in Loop: Header=BB2_57 Depth=2
	s_or_b32 exec_lo, exec_lo, s13
	v_mov_b64_e32 v[86:87], v[102:103]
.LBB2_81:                               ;   in Loop: Header=BB2_57 Depth=2
	s_or_b32 exec_lo, exec_lo, s20
	s_and_saveexec_b32 s13, s2
	s_cbranch_execz .LBB2_102
; %bb.82:                               ;   in Loop: Header=BB2_57 Depth=2
	s_and_saveexec_b32 s20, s3
	s_delay_alu instid0(SALU_CYCLE_1)
	s_xor_b32 s20, exec_lo, s20
	s_cbranch_execz .LBB2_99
; %bb.83:                               ;   in Loop: Header=BB2_57 Depth=2
	s_and_saveexec_b32 s29, s6
	s_cbranch_execz .LBB2_98
; %bb.84:                               ;   in Loop: Header=BB2_57 Depth=2
	s_mov_b32 s61, exec_lo
	s_mov_b32 s60, exec_lo
	v_mbcnt_lo_u32_b32 v9, s61, 0
	global_wb scope:SCOPE_DEV
	s_wait_storecnt 0x0
	s_wait_loadcnt_dscnt 0x0
	global_inv scope:SCOPE_DEV
	v_cmpx_eq_u32_e32 0, v9
	s_cbranch_execz .LBB2_86
; %bb.85:                               ;   in Loop: Header=BB2_57 Depth=2
	s_bcnt1_i32_b32 s61, s61
	s_delay_alu instid0(SALU_CYCLE_1)
	v_dual_mov_b32 v103, v2 :: v_dual_mov_b32 v102, s61
	s_wait_loadcnt 0x0
	ds_add_u64 v0, v[102:103]
	s_trap 2
.LBB2_86:                               ;   in Loop: Header=BB2_57 Depth=2
	s_or_b32 exec_lo, exec_lo, s60
	s_trap 2
	ds_load_b64 v[102:103], v0
	s_wait_dscnt 0x0
	v_add_nc_u64_e32 v[12:13], v[12:13], v[32:33]
	s_mov_b32 s60, exec_lo
	s_delay_alu instid0(VALU_DEP_1)
	v_cmpx_lt_u64_e64 v[102:103], v[12:13]
	s_cbranch_execz .LBB2_97
; %bb.87:                               ;   in Loop: Header=BB2_57 Depth=2
	s_mov_b32 s61, 0
	s_mov_b32 s72, 0
                                        ; implicit-def: $sgpr62
                                        ; implicit-def: $sgpr63
	s_branch .LBB2_89
.LBB2_88:                               ;   in Loop: Header=BB2_89 Depth=3
	s_or_b32 exec_lo, exec_lo, s74
	s_delay_alu instid0(SALU_CYCLE_1) | instskip(NEXT) | instid1(SALU_CYCLE_1)
	s_and_b32 s73, exec_lo, s75
	s_or_b32 s61, s73, s61
	s_and_not1_b32 s62, s62, exec_lo
	s_and_b32 s73, s63, exec_lo
	s_delay_alu instid0(SALU_CYCLE_1)
	s_or_b32 s62, s62, s73
	s_and_not1_b32 exec_lo, exec_lo, s61
	s_cbranch_execz .LBB2_95
.LBB2_89:                               ;   Parent Loop BB2_47 Depth=1
                                        ;     Parent Loop BB2_57 Depth=2
                                        ; =>    This Inner Loop Header: Depth=3
	s_add_co_i32 s72, s72, 1
	s_delay_alu instid0(SALU_CYCLE_1) | instskip(SKIP_1) | instid1(SALU_CYCLE_1)
	s_cmp_lg_u32 s72, 0x2710
	s_cselect_b32 s73, -1, 0
	s_and_b32 vcc_lo, exec_lo, s73
	s_cbranch_vccz .LBB2_91
; %bb.90:                               ;   in Loop: Header=BB2_89 Depth=3
	s_mov_b32 s75, -1
	s_or_b32 s63, s63, exec_lo
	s_and_saveexec_b32 s74, s73
	s_cbranch_execz .LBB2_88
	s_branch .LBB2_92
.LBB2_91:                               ;   in Loop: Header=BB2_89 Depth=3
	s_trap 2
	ds_load_b64 v[102:103], v0
	s_and_not1_b32 s73, s73, exec_lo
	s_mov_b32 s72, 0
	s_wait_loadcnt_dscnt 0x0
	flat_load_b32 v9, v[102:103] scope:SCOPE_SYS
	s_wait_loadcnt_dscnt 0x0
	global_inv scope:SCOPE_SYS
	v_cmp_eq_u32_e32 vcc_lo, 0, v9
	s_and_b32 s74, vcc_lo, exec_lo
	s_delay_alu instid0(SALU_CYCLE_1)
	s_or_b32 s73, s73, s74
	s_mov_b32 s75, -1
	s_or_b32 s63, s63, exec_lo
	s_and_saveexec_b32 s74, s73
	s_cbranch_execz .LBB2_88
.LBB2_92:                               ;   in Loop: Header=BB2_89 Depth=3
	s_sleep 1
	s_trap 2
	ds_load_b64 v[102:103], v0
	s_wait_dscnt 0x0
	s_and_not1_b32 s63, s63, exec_lo
	v_cmp_ge_u64_e32 vcc_lo, v[102:103], v[12:13]
	s_or_not1_b32 s75, vcc_lo, exec_lo
	s_branch .LBB2_88
.LBB2_93:                               ;   in Loop: Header=BB2_57 Depth=2
	s_and_not1_saveexec_b32 s13, s13
	s_cbranch_execz .LBB2_76
.LBB2_94:                               ;   in Loop: Header=BB2_57 Depth=2
	v_dual_mov_b32 v113, v2 :: v_dual_bitop2_b32 v112, 7, v86 bitop3:0x40
	s_or_b32 s29, s29, exec_lo
	s_or_b32 exec_lo, exec_lo, s13
	s_and_saveexec_b32 s13, s29
	s_cbranch_execnz .LBB2_77
	s_branch .LBB2_78
.LBB2_95:                               ;   in Loop: Header=BB2_57 Depth=2
	s_or_b32 exec_lo, exec_lo, s61
	s_and_saveexec_b32 s61, s62
	s_delay_alu instid0(SALU_CYCLE_1)
	s_xor_b32 s61, exec_lo, s61
	s_cbranch_execz .LBB2_97
; %bb.96:                               ;   in Loop: Header=BB2_57 Depth=2
	ds_store_b32 v0, v59
	s_trap 2
.LBB2_97:                               ;   in Loop: Header=BB2_57 Depth=2
	s_or_b32 exec_lo, exec_lo, s60
	;;#ASMSTART
	s_wakeup
	;;#ASMEND
.LBB2_98:                               ;   in Loop: Header=BB2_57 Depth=2
	s_or_b32 exec_lo, exec_lo, s29
.LBB2_99:                               ;   in Loop: Header=BB2_57 Depth=2
	s_and_not1_saveexec_b32 s20, s20
	s_cbranch_execz .LBB2_101
; %bb.100:                              ;   in Loop: Header=BB2_57 Depth=2
	global_wb scope:SCOPE_DEV
	s_wait_storecnt 0x0
	s_wait_loadcnt_dscnt 0x0
	global_inv scope:SCOPE_DEV
	s_barrier_signal -1
	s_barrier_wait -1
.LBB2_101:                              ;   in Loop: Header=BB2_57 Depth=2
	s_or_b32 exec_lo, exec_lo, s20
.LBB2_102:                              ;   in Loop: Header=BB2_57 Depth=2
	s_delay_alu instid0(SALU_CYCLE_1) | instskip(SKIP_4) | instid1(VALU_DEP_1)
	s_or_b32 exec_lo, exec_lo, s13
	s_trap 2
	ds_load_b32 v9, v0
	v_and_b32_e32 v11, 0x4000, v30
	s_xor_b32 s13, s1, -1
	v_cmp_ne_u32_e32 vcc_lo, 0, v11
	s_and_b32 s20, s13, vcc_lo
	s_delay_alu instid0(SALU_CYCLE_1)
	s_and_saveexec_b32 s13, s20
	s_cbranch_execz .LBB2_121
; %bb.103:                              ;   in Loop: Header=BB2_57 Depth=2
	s_and_saveexec_b32 s20, s3
	s_delay_alu instid0(SALU_CYCLE_1)
	s_xor_b32 s20, exec_lo, s20
	s_cbranch_execz .LBB2_118
; %bb.104:                              ;   in Loop: Header=BB2_57 Depth=2
	s_and_saveexec_b32 s29, s6
	s_cbranch_execz .LBB2_117
; %bb.105:                              ;   in Loop: Header=BB2_57 Depth=2
	s_mov_b32 s61, exec_lo
	s_mov_b32 s60, exec_lo
	v_mbcnt_lo_u32_b32 v11, s61, 0
	global_wb scope:SCOPE_DEV
	s_wait_storecnt 0x0
	s_wait_loadcnt_dscnt 0x0
	global_inv scope:SCOPE_DEV
	v_cmpx_eq_u32_e32 0, v11
	s_cbranch_execz .LBB2_107
; %bb.106:                              ;   in Loop: Header=BB2_57 Depth=2
	s_bcnt1_i32_b32 s61, s61
	s_delay_alu instid0(SALU_CYCLE_1)
	v_dual_mov_b32 v103, v2 :: v_dual_mov_b32 v102, s61
	s_wait_loadcnt 0x0
	ds_add_u64 v0, v[102:103]
	s_trap 2
.LBB2_107:                              ;   in Loop: Header=BB2_57 Depth=2
	s_or_b32 exec_lo, exec_lo, s60
	s_trap 2
	ds_load_b64 v[102:103], v0
	s_wait_dscnt 0x0
	v_add_nc_u64_e32 v[12:13], v[12:13], v[32:33]
	s_mov_b32 s60, exec_lo
	s_delay_alu instid0(VALU_DEP_1)
	v_cmpx_lt_u64_e64 v[102:103], v[12:13]
	s_cbranch_execz .LBB2_116
; %bb.108:                              ;   in Loop: Header=BB2_57 Depth=2
	s_mov_b32 s61, 0
	s_mov_b32 s72, 0
                                        ; implicit-def: $sgpr62
                                        ; implicit-def: $sgpr63
	s_branch .LBB2_110
.LBB2_109:                              ;   in Loop: Header=BB2_110 Depth=3
	s_or_b32 exec_lo, exec_lo, s74
	s_delay_alu instid0(SALU_CYCLE_1) | instskip(NEXT) | instid1(SALU_CYCLE_1)
	s_and_b32 s73, exec_lo, s75
	s_or_b32 s61, s73, s61
	s_and_not1_b32 s62, s62, exec_lo
	s_and_b32 s73, s63, exec_lo
	s_delay_alu instid0(SALU_CYCLE_1)
	s_or_b32 s62, s62, s73
	s_and_not1_b32 exec_lo, exec_lo, s61
	s_cbranch_execz .LBB2_114
.LBB2_110:                              ;   Parent Loop BB2_47 Depth=1
                                        ;     Parent Loop BB2_57 Depth=2
                                        ; =>    This Inner Loop Header: Depth=3
	s_add_co_i32 s72, s72, 1
	s_delay_alu instid0(SALU_CYCLE_1) | instskip(SKIP_1) | instid1(SALU_CYCLE_1)
	s_cmp_lg_u32 s72, 0x2710
	s_cselect_b32 s73, -1, 0
	s_and_b32 vcc_lo, exec_lo, s73
	s_cbranch_vccz .LBB2_112
; %bb.111:                              ;   in Loop: Header=BB2_110 Depth=3
	s_mov_b32 s75, -1
	s_or_b32 s63, s63, exec_lo
	s_and_saveexec_b32 s74, s73
	s_cbranch_execz .LBB2_109
	s_branch .LBB2_113
.LBB2_112:                              ;   in Loop: Header=BB2_110 Depth=3
	s_trap 2
	ds_load_b64 v[102:103], v0
	s_and_not1_b32 s73, s73, exec_lo
	s_mov_b32 s72, 0
	s_wait_loadcnt_dscnt 0x0
	flat_load_b32 v11, v[102:103] scope:SCOPE_SYS
	s_wait_loadcnt_dscnt 0x0
	global_inv scope:SCOPE_SYS
	v_cmp_eq_u32_e32 vcc_lo, 0, v11
	s_and_b32 s74, vcc_lo, exec_lo
	s_delay_alu instid0(SALU_CYCLE_1)
	s_or_b32 s73, s73, s74
	s_mov_b32 s75, -1
	s_or_b32 s63, s63, exec_lo
	s_and_saveexec_b32 s74, s73
	s_cbranch_execz .LBB2_109
.LBB2_113:                              ;   in Loop: Header=BB2_110 Depth=3
	s_sleep 1
	s_trap 2
	ds_load_b64 v[102:103], v0
	s_wait_dscnt 0x0
	s_and_not1_b32 s63, s63, exec_lo
	v_cmp_ge_u64_e32 vcc_lo, v[102:103], v[12:13]
	s_or_not1_b32 s75, vcc_lo, exec_lo
	s_branch .LBB2_109
.LBB2_114:                              ;   in Loop: Header=BB2_57 Depth=2
	s_or_b32 exec_lo, exec_lo, s61
	s_and_saveexec_b32 s61, s62
	s_delay_alu instid0(SALU_CYCLE_1)
	s_xor_b32 s61, exec_lo, s61
	s_cbranch_execz .LBB2_116
; %bb.115:                              ;   in Loop: Header=BB2_57 Depth=2
	ds_store_b32 v0, v59
	s_trap 2
.LBB2_116:                              ;   in Loop: Header=BB2_57 Depth=2
	s_or_b32 exec_lo, exec_lo, s60
	;;#ASMSTART
	s_wakeup
	;;#ASMEND
.LBB2_117:                              ;   in Loop: Header=BB2_57 Depth=2
	s_or_b32 exec_lo, exec_lo, s29
.LBB2_118:                              ;   in Loop: Header=BB2_57 Depth=2
	s_and_not1_saveexec_b32 s20, s20
	s_cbranch_execz .LBB2_120
; %bb.119:                              ;   in Loop: Header=BB2_57 Depth=2
	global_wb scope:SCOPE_DEV
	s_wait_storecnt 0x0
	s_wait_loadcnt_dscnt 0x0
	global_inv scope:SCOPE_DEV
	s_barrier_signal -1
	s_barrier_wait -1
.LBB2_120:                              ;   in Loop: Header=BB2_57 Depth=2
	s_or_b32 exec_lo, exec_lo, s20
.LBB2_121:                              ;   in Loop: Header=BB2_57 Depth=2
	s_delay_alu instid0(SALU_CYCLE_1)
	s_or_b32 exec_lo, exec_lo, s13
	s_trap 2
	ds_load_b64 v[102:103], v0
	s_wait_dscnt 0x0
	v_cmp_eq_u64_e32 vcc_lo, 0, v[102:103]
	s_cbranch_vccnz .LBB2_129
; %bb.122:                              ;   in Loop: Header=BB2_57 Depth=2
	s_trap 2
	ds_load_b64 v[112:113], v0
	s_wait_dscnt 0x0
	v_cmp_eq_u64_e32 vcc_lo, 0, v[112:113]
	s_cbranch_vccnz .LBB2_129
; %bb.123:                              ;   in Loop: Header=BB2_57 Depth=2
	s_mov_b32 s13, -1
	s_and_saveexec_b32 s20, s7
	s_cbranch_execz .LBB2_125
; %bb.124:                              ;   in Loop: Header=BB2_57 Depth=2
	ds_load_b32 v11, v0 offset:720
	s_wait_dscnt 0x0
	v_and_b32_e32 v11, 15, v11
	s_delay_alu instid0(VALU_DEP_1)
	v_cmp_eq_u32_e32 vcc_lo, 0, v11
	s_or_not1_b32 s13, vcc_lo, exec_lo
.LBB2_125:                              ;   in Loop: Header=BB2_57 Depth=2
	s_or_b32 exec_lo, exec_lo, s20
	s_and_saveexec_b32 s20, s10
	s_cbranch_execz .LBB2_127
; %bb.126:                              ;   in Loop: Header=BB2_57 Depth=2
	ds_load_b32 v11, v0 offset:784
	s_wait_dscnt 0x0
	v_and_b32_e32 v11, 15, v11
	s_delay_alu instid0(VALU_DEP_1) | instskip(SKIP_3) | instid1(SALU_CYCLE_1)
	v_cmp_eq_u32_e32 vcc_lo, 0, v11
	s_and_b32 s29, s13, vcc_lo
	s_and_not1_b32 s13, s13, exec_lo
	s_and_b32 s29, s29, exec_lo
	s_or_b32 s13, s13, s29
.LBB2_127:                              ;   in Loop: Header=BB2_57 Depth=2
	s_or_b32 exec_lo, exec_lo, s20
	v_cmp_eq_u32_e32 vcc_lo, 0, v9
	s_xor_b32 s13, s13, -1
	s_mov_b32 s29, -1
	v_cndmask_b32_e64 v11, 0, 1, s13
	v_dual_mov_b32 v116, 0 :: v_dual_cndmask_b32 v9, 0, v8
	s_delay_alu instid0(VALU_DEP_2) | instskip(NEXT) | instid1(VALU_DEP_2)
	v_cmp_ne_u32_e32 vcc_lo, 0, v11
	v_lshlrev_b32_e32 v11, 2, v9
	s_cbranch_vccz .LBB2_130
; %bb.128:                              ;   in Loop: Header=BB2_57 Depth=2
	v_mov_b32_e32 v117, v0
	s_and_saveexec_b32 s13, s29
	s_cbranch_execnz .LBB2_141
	s_branch .LBB2_149
.LBB2_129:                              ;   in Loop: Header=BB2_57 Depth=2
	s_mov_b32 s13, 0
	s_and_saveexec_b32 s20, s2
	s_cbranch_execnz .LBB2_150
	s_branch .LBB2_168
.LBB2_130:                              ;   in Loop: Header=BB2_57 Depth=2
	s_delay_alu instid0(VALU_DEP_1) | instskip(SKIP_1) | instid1(VALU_DEP_1)
	v_ashrrev_i32_e32 v114, 31, v11
	s_mov_b32 s13, exec_lo
	v_lshrrev_b32_e32 v114, 22, v114
	s_delay_alu instid0(VALU_DEP_1) | instskip(NEXT) | instid1(VALU_DEP_1)
	v_add_nc_u32_e32 v114, v11, v114
	v_ashrrev_i32_e32 v116, 10, v114
	s_delay_alu instid0(VALU_DEP_1) | instskip(NEXT) | instid1(VALU_DEP_1)
	v_sub_nc_u32_e32 v119, v116, v58
	v_cmpx_lt_i32_e32 0, v119
	s_cbranch_execz .LBB2_134
; %bb.131:                              ;   in Loop: Header=BB2_57 Depth=2
	v_mov_b64_e32 v[114:115], v[66:67]
	s_mov_b32 s20, 0
.LBB2_132:                              ;   Parent Loop BB2_47 Depth=1
                                        ;     Parent Loop BB2_57 Depth=2
                                        ; =>    This Inner Loop Header: Depth=3
	s_delay_alu instid0(VALU_DEP_1)
	v_add_nc_u64_e32 v[44:45], v[102:103], v[114:115]
	v_sub_nc_u32_e32 v119, v119, v32
	v_add_nc_u64_e32 v[62:63], v[112:113], v[114:115]
	v_add_nc_u64_e32 v[114:115], v[114:115], v[48:49]
	s_clause 0x1
	global_load_b128 v[40:43], v[44:45], off th:TH_LOAD_NT
	global_load_b128 v[44:47], v[44:45], off offset:512 th:TH_LOAD_NT
	v_cmp_gt_i32_e32 vcc_lo, 1, v119
	s_wait_loadcnt 0x1
	global_store_b128 v[62:63], v[40:43], off th:TH_STORE_NT
	s_wait_loadcnt 0x0
	global_store_b128 v[62:63], v[44:47], off offset:512 th:TH_STORE_NT
	s_or_b32 s20, vcc_lo, s20
	s_wait_xcnt 0x0
	s_and_not1_b32 exec_lo, exec_lo, s20
	s_cbranch_execnz .LBB2_132
; %bb.133:                              ;   in Loop: Header=BB2_57 Depth=2
	s_or_b32 exec_lo, exec_lo, s20
.LBB2_134:                              ;   in Loop: Header=BB2_57 Depth=2
	s_delay_alu instid0(SALU_CYCLE_1) | instskip(SKIP_3) | instid1(VALU_DEP_1)
	s_or_b32 exec_lo, exec_lo, s13
	v_dual_lshlrev_b32 v118, 10, v116 :: v_dual_mov_b32 v116, 0
	s_mov_b32 s29, 0
	s_mov_b32 s20, exec_lo
                                        ; implicit-def: $vgpr117
	v_cmpx_ne_u32_e64 v11, v118
	s_cbranch_execz .LBB2_140
; %bb.135:                              ;   in Loop: Header=BB2_57 Depth=2
	v_dual_lshlrev_b32 v114, 5, v119 :: v_dual_sub_nc_u32 v40, v11, v118
	s_mov_b32 s29, exec_lo
	s_delay_alu instid0(VALU_DEP_1) | instskip(NEXT) | instid1(VALU_DEP_1)
	v_dual_sub_nc_u32 v114, v57, v114 :: v_dual_ashrrev_i32 v116, 31, v40
	v_dual_ashrrev_i32 v115, 31, v114 :: v_dual_lshrrev_b32 v116, 23, v116
	s_delay_alu instid0(VALU_DEP_1) | instskip(NEXT) | instid1(VALU_DEP_1)
	v_lshrrev_b32_e32 v115, 27, v115
	v_add_nc_u32_e32 v115, v114, v115
	s_delay_alu instid0(VALU_DEP_1) | instskip(NEXT) | instid1(VALU_DEP_1)
	v_and_b32_e32 v117, 0xffffffe0, v115
	v_dual_add_nc_u32 v41, v40, v116 :: v_dual_sub_nc_u32 v117, v114, v117
	s_delay_alu instid0(VALU_DEP_1) | instskip(SKIP_1) | instid1(VALU_DEP_2)
	v_and_b32_e32 v116, 0xfffffe00, v41
	v_dual_ashrrev_i32 v115, 5, v115 :: v_dual_ashrrev_i32 v41, 9, v41
	v_dual_lshlrev_b32 v114, 4, v117 :: v_dual_sub_nc_u32 v119, v40, v116
	s_delay_alu instid0(VALU_DEP_1) | instskip(NEXT) | instid1(VALU_DEP_2)
	v_lshl_add_u32 v114, v115, 9, v114
	v_cmp_lt_i32_e32 vcc_lo, 15, v119
	s_delay_alu instid0(VALU_DEP_4) | instskip(NEXT) | instid1(VALU_DEP_1)
	v_add_co_ci_u32_e64 v42, null, 0, v41, vcc_lo
	v_dual_sub_nc_u32 v41, v40, v114 :: v_dual_sub_nc_u32 v40, v42, v115
	s_delay_alu instid0(VALU_DEP_1)
	v_cmpx_lt_i32_e32 15, v41
	s_cbranch_execz .LBB2_139
; %bb.136:                              ;   in Loop: Header=BB2_57 Depth=2
	v_add_nc_u32_e32 v114, v114, v118
	s_mov_b32 s60, 0
	s_delay_alu instid0(VALU_DEP_1)
	v_ashrrev_i32_e32 v115, 31, v114
.LBB2_137:                              ;   Parent Loop BB2_47 Depth=1
                                        ;     Parent Loop BB2_57 Depth=2
                                        ; =>    This Inner Loop Header: Depth=3
	s_delay_alu instid0(VALU_DEP_1) | instskip(SKIP_3) | instid1(VALU_DEP_3)
	v_add_nc_u64_e32 v[42:43], v[102:103], v[114:115]
	v_dual_sub_nc_u32 v41, v41, v50 :: v_dual_sub_nc_u32 v40, v40, v32
	v_add_nc_u64_e32 v[46:47], v[112:113], v[114:115]
	v_add_nc_u64_e32 v[114:115], v[114:115], v[50:51]
	v_cmp_gt_i32_e64 s13, 16, v41
	global_load_b128 v[42:45], v[42:43], off th:TH_LOAD_NT
	s_or_b32 s60, s13, s60
	s_wait_loadcnt 0x0
	global_store_b128 v[46:47], v[42:45], off th:TH_STORE_NT
	s_wait_xcnt 0x0
	s_and_not1_b32 exec_lo, exec_lo, s60
	s_cbranch_execnz .LBB2_137
; %bb.138:                              ;   in Loop: Header=BB2_57 Depth=2
	s_or_b32 exec_lo, exec_lo, s60
.LBB2_139:                              ;   in Loop: Header=BB2_57 Depth=2
	s_delay_alu instid0(SALU_CYCLE_1) | instskip(NEXT) | instid1(VALU_DEP_2)
	s_or_b32 exec_lo, exec_lo, s29
	v_cmp_lt_i32_e64 s13, 0, v40
	s_delay_alu instid0(VALU_DEP_1) | instskip(NEXT) | instid1(VALU_DEP_1)
	v_dual_cndmask_b32 v115, 0, v32, s13 :: v_dual_bitop2_b32 v11, 12, v11 bitop3:0x40
	v_dual_cndmask_b32 v11, v119, v11 :: v_dual_sub_nc_u32 v114, v119, v11
	s_delay_alu instid0(VALU_DEP_1) | instskip(NEXT) | instid1(VALU_DEP_2)
	v_dual_cndmask_b32 v114, 0, v114 :: v_dual_sub_nc_u32 v115, v115, v40
	v_cmp_ne_u32_e32 vcc_lo, 0, v11
	s_delay_alu instid0(VALU_DEP_2) | instskip(NEXT) | instid1(VALU_DEP_3)
	v_lshl_add_u32 v117, v115, 5, v117
	v_add3_u32 v116, v116, v118, v114
	s_and_b32 s29, vcc_lo, exec_lo
.LBB2_140:                              ;   in Loop: Header=BB2_57 Depth=2
	s_or_b32 exec_lo, exec_lo, s20
	s_and_saveexec_b32 s13, s29
	s_cbranch_execz .LBB2_149
.LBB2_141:                              ;   in Loop: Header=BB2_57 Depth=2
	s_delay_alu instid0(VALU_DEP_1) | instskip(SKIP_1) | instid1(VALU_DEP_1)
	v_dual_ashrrev_i32 v114, 31, v117 :: v_dual_ashrrev_i32 v115, 31, v11
	s_mov_b32 s20, exec_lo
	v_dual_lshrrev_b32 v114, 27, v114 :: v_dual_lshrrev_b32 v115, 24, v115
	s_delay_alu instid0(VALU_DEP_1) | instskip(NEXT) | instid1(VALU_DEP_1)
	v_dual_add_nc_u32 v114, v117, v114 :: v_dual_add_nc_u32 v115, v11, v115
	v_dual_ashrrev_i32 v118, 5, v114 :: v_dual_ashrrev_i32 v40, 8, v115
	s_delay_alu instid0(VALU_DEP_1) | instskip(NEXT) | instid1(VALU_DEP_1)
	v_sub_nc_u32_e32 v119, v40, v118
	v_cmpx_lt_i32_e32 0, v119
	s_cbranch_execz .LBB2_145
; %bb.142:                              ;   in Loop: Header=BB2_57 Depth=2
	v_and_b32_e32 v114, 0x3fffffe0, v114
	v_lshlrev_b32_e32 v115, 8, v118
	s_mov_b32 s29, 0
	s_delay_alu instid0(VALU_DEP_2) | instskip(NEXT) | instid1(VALU_DEP_1)
	v_sub_nc_u32_e32 v114, v117, v114
	v_lshlrev_b32_e32 v114, 2, v114
	s_delay_alu instid0(VALU_DEP_1) | instskip(NEXT) | instid1(VALU_DEP_1)
	v_add3_u32 v114, v114, v116, v115
	v_ashrrev_i32_e32 v115, 31, v114
.LBB2_143:                              ;   Parent Loop BB2_47 Depth=1
                                        ;     Parent Loop BB2_57 Depth=2
                                        ; =>    This Inner Loop Header: Depth=3
	s_delay_alu instid0(VALU_DEP_1)
	v_add_nc_u64_e32 v[42:43], v[102:103], v[114:115]
	v_sub_nc_u32_e32 v119, v119, v32
	s_clause 0x1
	flat_load_b32 v41, v[42:43] th:TH_LOAD_NT
	flat_load_b32 v44, v[42:43] offset:128 th:TH_LOAD_NT
	s_wait_xcnt 0x0
	v_add_nc_u64_e32 v[42:43], v[112:113], v[114:115]
	v_cmp_gt_i32_e32 vcc_lo, 1, v119
	v_add_nc_u64_e32 v[114:115], v[114:115], v[52:53]
	s_wait_loadcnt_dscnt 0x101
	flat_store_b32 v[42:43], v41 th:TH_STORE_NT
	s_wait_loadcnt_dscnt 0x1
	flat_store_b32 v[42:43], v44 offset:128 th:TH_STORE_NT
	s_or_b32 s29, vcc_lo, s29
	s_wait_xcnt 0x0
	s_and_not1_b32 exec_lo, exec_lo, s29
	s_cbranch_execnz .LBB2_143
; %bb.144:                              ;   in Loop: Header=BB2_57 Depth=2
	s_or_b32 exec_lo, exec_lo, s29
.LBB2_145:                              ;   in Loop: Header=BB2_57 Depth=2
	s_delay_alu instid0(SALU_CYCLE_1) | instskip(SKIP_1) | instid1(VALU_DEP_1)
	s_or_b32 exec_lo, exec_lo, s20
	v_lshlrev_b32_e32 v114, 8, v40
	v_cmp_ne_u32_e32 vcc_lo, v11, v114
	s_and_b32 exec_lo, exec_lo, vcc_lo
	s_cbranch_execz .LBB2_149
; %bb.146:                              ;   in Loop: Header=BB2_57 Depth=2
	v_lshlrev_b32_e32 v115, 5, v118
	s_delay_alu instid0(VALU_DEP_1) | instskip(SKIP_1) | instid1(VALU_DEP_1)
	v_sub_nc_u32_e32 v115, v117, v115
	v_lshlrev_b32_e32 v117, 5, v119
	v_sub_nc_u32_e32 v115, v115, v117
	s_delay_alu instid0(VALU_DEP_1) | instskip(NEXT) | instid1(VALU_DEP_1)
	v_ashrrev_i32_e32 v117, 31, v115
	v_lshrrev_b32_e32 v117, 27, v117
	s_delay_alu instid0(VALU_DEP_1) | instskip(NEXT) | instid1(VALU_DEP_1)
	v_add_nc_u32_e32 v117, v115, v117
	v_and_b32_e32 v118, 0x3fffffe0, v117
	s_delay_alu instid0(VALU_DEP_1) | instskip(NEXT) | instid1(VALU_DEP_1)
	v_dual_lshlrev_b32 v117, 2, v117 :: v_dual_sub_nc_u32 v115, v115, v118
	v_and_b32_e32 v117, 0xffffff80, v117
	s_delay_alu instid0(VALU_DEP_2) | instskip(NEXT) | instid1(VALU_DEP_1)
	v_lshlrev_b32_e32 v115, 2, v115
	v_add3_u32 v114, v117, v115, v114
	s_delay_alu instid0(VALU_DEP_1) | instskip(NEXT) | instid1(VALU_DEP_1)
	v_sub_nc_u32_e32 v11, v11, v114
	v_cmp_lt_i32_e32 vcc_lo, 3, v11
	s_and_b32 exec_lo, exec_lo, vcc_lo
	s_cbranch_execz .LBB2_149
; %bb.147:                              ;   in Loop: Header=BB2_57 Depth=2
	v_add_nc_u32_e32 v114, v114, v116
	s_mov_b32 s20, 0
	s_delay_alu instid0(VALU_DEP_1)
	v_ashrrev_i32_e32 v115, 31, v114
.LBB2_148:                              ;   Parent Loop BB2_47 Depth=1
                                        ;     Parent Loop BB2_57 Depth=2
                                        ; =>    This Inner Loop Header: Depth=3
	s_delay_alu instid0(VALU_DEP_1) | instskip(SKIP_1) | instid1(VALU_DEP_1)
	v_add_nc_u64_e32 v[116:117], v[102:103], v[114:115]
	v_sub_nc_u32_e32 v11, v11, v54
	v_cmp_gt_i32_e32 vcc_lo, 4, v11
	flat_load_b32 v118, v[116:117] th:TH_LOAD_NT
	s_wait_xcnt 0x0
	v_add_nc_u64_e32 v[116:117], v[112:113], v[114:115]
	v_add_nc_u64_e32 v[114:115], v[114:115], v[54:55]
	s_or_b32 s20, vcc_lo, s20
	s_wait_loadcnt_dscnt 0x0
	flat_store_b32 v[116:117], v118 th:TH_STORE_NT
	s_wait_xcnt 0x0
	s_and_not1_b32 exec_lo, exec_lo, s20
	s_cbranch_execnz .LBB2_148
.LBB2_149:                              ;   in Loop: Header=BB2_57 Depth=2
	s_or_b32 exec_lo, exec_lo, s13
	v_cmp_lt_i32_e64 s13, 0, v9
	s_and_saveexec_b32 s20, s2
	s_cbranch_execz .LBB2_168
.LBB2_150:                              ;   in Loop: Header=BB2_57 Depth=2
	s_and_saveexec_b32 s29, s3
	s_delay_alu instid0(SALU_CYCLE_1)
	s_xor_b32 s29, exec_lo, s29
	s_cbranch_execz .LBB2_165
; %bb.151:                              ;   in Loop: Header=BB2_57 Depth=2
	s_and_saveexec_b32 s60, s6
	s_cbranch_execz .LBB2_164
; %bb.152:                              ;   in Loop: Header=BB2_57 Depth=2
	s_mov_b32 s62, exec_lo
	s_mov_b32 s61, exec_lo
	v_mbcnt_lo_u32_b32 v9, s62, 0
	global_wb scope:SCOPE_DEV
	s_wait_storecnt 0x0
	s_wait_loadcnt_dscnt 0x0
	global_inv scope:SCOPE_DEV
	v_cmpx_eq_u32_e32 0, v9
	s_cbranch_execz .LBB2_154
; %bb.153:                              ;   in Loop: Header=BB2_57 Depth=2
	s_bcnt1_i32_b32 s62, s62
	s_delay_alu instid0(SALU_CYCLE_1)
	v_dual_mov_b32 v103, v2 :: v_dual_mov_b32 v102, s62
	s_wait_loadcnt 0x0
	ds_add_u64 v0, v[102:103]
	s_trap 2
.LBB2_154:                              ;   in Loop: Header=BB2_57 Depth=2
	s_or_b32 exec_lo, exec_lo, s61
	s_trap 2
	ds_load_b64 v[102:103], v0
	s_wait_dscnt 0x0
	v_add_nc_u64_e32 v[12:13], v[12:13], v[32:33]
	s_mov_b32 s61, exec_lo
	s_delay_alu instid0(VALU_DEP_1)
	v_cmpx_lt_u64_e64 v[102:103], v[12:13]
	s_cbranch_execz .LBB2_163
; %bb.155:                              ;   in Loop: Header=BB2_57 Depth=2
	s_mov_b32 s62, 0
	s_mov_b32 s73, 0
                                        ; implicit-def: $sgpr63
                                        ; implicit-def: $sgpr72
	s_branch .LBB2_157
.LBB2_156:                              ;   in Loop: Header=BB2_157 Depth=3
	s_or_b32 exec_lo, exec_lo, s75
	s_delay_alu instid0(SALU_CYCLE_1) | instskip(NEXT) | instid1(SALU_CYCLE_1)
	s_and_b32 s74, exec_lo, s76
	s_or_b32 s62, s74, s62
	s_and_not1_b32 s63, s63, exec_lo
	s_and_b32 s74, s72, exec_lo
	s_delay_alu instid0(SALU_CYCLE_1)
	s_or_b32 s63, s63, s74
	s_and_not1_b32 exec_lo, exec_lo, s62
	s_cbranch_execz .LBB2_161
.LBB2_157:                              ;   Parent Loop BB2_47 Depth=1
                                        ;     Parent Loop BB2_57 Depth=2
                                        ; =>    This Inner Loop Header: Depth=3
	s_add_co_i32 s73, s73, 1
	s_delay_alu instid0(SALU_CYCLE_1) | instskip(SKIP_1) | instid1(SALU_CYCLE_1)
	s_cmp_lg_u32 s73, 0x2710
	s_cselect_b32 s74, -1, 0
	s_and_b32 vcc_lo, exec_lo, s74
	s_cbranch_vccz .LBB2_159
; %bb.158:                              ;   in Loop: Header=BB2_157 Depth=3
	s_mov_b32 s76, -1
	s_or_b32 s72, s72, exec_lo
	s_and_saveexec_b32 s75, s74
	s_cbranch_execz .LBB2_156
	s_branch .LBB2_160
.LBB2_159:                              ;   in Loop: Header=BB2_157 Depth=3
	s_trap 2
	ds_load_b64 v[102:103], v0
	s_and_not1_b32 s74, s74, exec_lo
	s_mov_b32 s73, 0
	s_wait_loadcnt_dscnt 0x0
	flat_load_b32 v9, v[102:103] scope:SCOPE_SYS
	s_wait_loadcnt_dscnt 0x0
	global_inv scope:SCOPE_SYS
	v_cmp_eq_u32_e32 vcc_lo, 0, v9
	s_and_b32 s75, vcc_lo, exec_lo
	s_delay_alu instid0(SALU_CYCLE_1)
	s_or_b32 s74, s74, s75
	s_mov_b32 s76, -1
	s_or_b32 s72, s72, exec_lo
	s_and_saveexec_b32 s75, s74
	s_cbranch_execz .LBB2_156
.LBB2_160:                              ;   in Loop: Header=BB2_157 Depth=3
	s_sleep 1
	s_trap 2
	ds_load_b64 v[102:103], v0
	s_wait_dscnt 0x0
	s_and_not1_b32 s72, s72, exec_lo
	v_cmp_ge_u64_e32 vcc_lo, v[102:103], v[12:13]
	s_or_not1_b32 s76, vcc_lo, exec_lo
	s_branch .LBB2_156
.LBB2_161:                              ;   in Loop: Header=BB2_57 Depth=2
	s_or_b32 exec_lo, exec_lo, s62
	s_and_saveexec_b32 s62, s63
	s_delay_alu instid0(SALU_CYCLE_1)
	s_xor_b32 s62, exec_lo, s62
	s_cbranch_execz .LBB2_163
; %bb.162:                              ;   in Loop: Header=BB2_57 Depth=2
	ds_store_b32 v0, v59
	s_trap 2
.LBB2_163:                              ;   in Loop: Header=BB2_57 Depth=2
	s_or_b32 exec_lo, exec_lo, s61
	;;#ASMSTART
	s_wakeup
	;;#ASMEND
.LBB2_164:                              ;   in Loop: Header=BB2_57 Depth=2
	s_or_b32 exec_lo, exec_lo, s60
.LBB2_165:                              ;   in Loop: Header=BB2_57 Depth=2
	s_and_not1_saveexec_b32 s29, s29
	s_cbranch_execz .LBB2_167
; %bb.166:                              ;   in Loop: Header=BB2_57 Depth=2
	global_wb scope:SCOPE_DEV
	s_wait_storecnt 0x0
	s_wait_loadcnt_dscnt 0x0
	global_inv scope:SCOPE_DEV
	s_barrier_signal -1
	s_barrier_wait -1
.LBB2_167:                              ;   in Loop: Header=BB2_57 Depth=2
	s_or_b32 exec_lo, exec_lo, s29
.LBB2_168:                              ;   in Loop: Header=BB2_57 Depth=2
	s_delay_alu instid0(SALU_CYCLE_1) | instskip(SKIP_2) | instid1(SALU_CYCLE_1)
	s_or_b32 exec_lo, exec_lo, s20
	v_and_b32_e32 v9, 16, v30
	s_and_saveexec_b32 s20, s12
	s_xor_b32 s20, exec_lo, s20
	s_cbranch_execz .LBB2_172
; %bb.169:                              ;   in Loop: Header=BB2_57 Depth=2
	v_and_b32_e32 v9, 16, v30
	s_delay_alu instid0(VALU_DEP_1) | instskip(SKIP_2) | instid1(SALU_CYCLE_1)
	v_cmp_ne_u32_e32 vcc_lo, 0, v9
	v_and_b32_e32 v9, 16, v30
	s_and_b32 s29, vcc_lo, s13
	s_and_saveexec_b32 s13, s29
	s_cbranch_execz .LBB2_171
; %bb.170:                              ;   in Loop: Header=BB2_57 Depth=2
	v_mov_b32_e32 v9, 1
	global_wb scope:SCOPE_SYS
	s_wait_storecnt 0x0
	s_wait_loadcnt_dscnt 0x0
	global_inv scope:SCOPE_SYS
.LBB2_171:                              ;   in Loop: Header=BB2_57 Depth=2
	s_or_b32 exec_lo, exec_lo, s13
.LBB2_172:                              ;   in Loop: Header=BB2_57 Depth=2
	s_and_not1_saveexec_b32 s13, s20
	s_cbranch_execz .LBB2_191
; %bb.173:                              ;   in Loop: Header=BB2_57 Depth=2
	s_and_saveexec_b32 s20, s3
	s_delay_alu instid0(SALU_CYCLE_1)
	s_xor_b32 s20, exec_lo, s20
	s_cbranch_execz .LBB2_188
; %bb.174:                              ;   in Loop: Header=BB2_57 Depth=2
	s_and_saveexec_b32 s29, s6
	s_cbranch_execz .LBB2_187
; %bb.175:                              ;   in Loop: Header=BB2_57 Depth=2
	s_mov_b32 s61, exec_lo
	s_mov_b32 s60, exec_lo
	v_mbcnt_lo_u32_b32 v11, s61, 0
	;;#ASMSTART
	s_waitcnt lgkmcnt(0) vmcnt(0)
	;;#ASMEND
	s_delay_alu instid0(VALU_DEP_1)
	v_cmpx_eq_u32_e32 0, v11
	s_cbranch_execz .LBB2_177
; %bb.176:                              ;   in Loop: Header=BB2_57 Depth=2
	s_bcnt1_i32_b32 s61, s61
	s_delay_alu instid0(SALU_CYCLE_1)
	v_dual_mov_b32 v103, v2 :: v_dual_mov_b32 v102, s61
	s_wait_storecnt 0x0
	s_wait_loadcnt_dscnt 0x0
	ds_add_u64 v0, v[102:103]
	s_trap 2
.LBB2_177:                              ;   in Loop: Header=BB2_57 Depth=2
	s_or_b32 exec_lo, exec_lo, s60
	s_trap 2
	ds_load_b64 v[102:103], v0
	s_wait_dscnt 0x0
	v_add_nc_u64_e32 v[12:13], v[12:13], v[32:33]
	s_mov_b32 s60, exec_lo
	s_delay_alu instid0(VALU_DEP_1)
	v_cmpx_lt_u64_e64 v[102:103], v[12:13]
	s_cbranch_execz .LBB2_186
; %bb.178:                              ;   in Loop: Header=BB2_57 Depth=2
	s_mov_b32 s61, 0
	s_mov_b32 s72, 0
                                        ; implicit-def: $sgpr62
                                        ; implicit-def: $sgpr63
	s_branch .LBB2_180
.LBB2_179:                              ;   in Loop: Header=BB2_180 Depth=3
	s_or_b32 exec_lo, exec_lo, s74
	s_delay_alu instid0(SALU_CYCLE_1) | instskip(NEXT) | instid1(SALU_CYCLE_1)
	s_and_b32 s73, exec_lo, s75
	s_or_b32 s61, s73, s61
	s_and_not1_b32 s62, s62, exec_lo
	s_and_b32 s73, s63, exec_lo
	s_delay_alu instid0(SALU_CYCLE_1)
	s_or_b32 s62, s62, s73
	s_and_not1_b32 exec_lo, exec_lo, s61
	s_cbranch_execz .LBB2_184
.LBB2_180:                              ;   Parent Loop BB2_47 Depth=1
                                        ;     Parent Loop BB2_57 Depth=2
                                        ; =>    This Inner Loop Header: Depth=3
	s_add_co_i32 s72, s72, 1
	s_delay_alu instid0(SALU_CYCLE_1) | instskip(SKIP_1) | instid1(SALU_CYCLE_1)
	s_cmp_lg_u32 s72, 0x2710
	s_cselect_b32 s73, -1, 0
	s_and_b32 vcc_lo, exec_lo, s73
	s_cbranch_vccz .LBB2_182
; %bb.181:                              ;   in Loop: Header=BB2_180 Depth=3
	s_mov_b32 s75, -1
	s_or_b32 s63, s63, exec_lo
	s_and_saveexec_b32 s74, s73
	s_cbranch_execz .LBB2_179
	s_branch .LBB2_183
.LBB2_182:                              ;   in Loop: Header=BB2_180 Depth=3
	s_trap 2
	ds_load_b64 v[102:103], v0
	s_and_not1_b32 s73, s73, exec_lo
	s_mov_b32 s72, 0
	s_wait_storecnt 0x0
	s_wait_loadcnt_dscnt 0x0
	flat_load_b32 v11, v[102:103] scope:SCOPE_SYS
	s_wait_loadcnt_dscnt 0x0
	global_inv scope:SCOPE_SYS
	v_cmp_eq_u32_e32 vcc_lo, 0, v11
	s_and_b32 s74, vcc_lo, exec_lo
	s_delay_alu instid0(SALU_CYCLE_1)
	s_or_b32 s73, s73, s74
	s_mov_b32 s75, -1
	s_or_b32 s63, s63, exec_lo
	s_and_saveexec_b32 s74, s73
	s_cbranch_execz .LBB2_179
.LBB2_183:                              ;   in Loop: Header=BB2_180 Depth=3
	s_sleep 1
	s_trap 2
	ds_load_b64 v[102:103], v0
	s_wait_dscnt 0x0
	s_and_not1_b32 s63, s63, exec_lo
	v_cmp_ge_u64_e32 vcc_lo, v[102:103], v[12:13]
	s_or_not1_b32 s75, vcc_lo, exec_lo
	s_branch .LBB2_179
.LBB2_184:                              ;   in Loop: Header=BB2_57 Depth=2
	s_or_b32 exec_lo, exec_lo, s61
	s_and_saveexec_b32 s61, s62
	s_delay_alu instid0(SALU_CYCLE_1)
	s_xor_b32 s61, exec_lo, s61
	s_cbranch_execz .LBB2_186
; %bb.185:                              ;   in Loop: Header=BB2_57 Depth=2
	ds_store_b32 v0, v59
	s_trap 2
.LBB2_186:                              ;   in Loop: Header=BB2_57 Depth=2
	s_or_b32 exec_lo, exec_lo, s60
	;;#ASMSTART
	s_wakeup
	;;#ASMEND
.LBB2_187:                              ;   in Loop: Header=BB2_57 Depth=2
	s_or_b32 exec_lo, exec_lo, s29
.LBB2_188:                              ;   in Loop: Header=BB2_57 Depth=2
	s_and_not1_saveexec_b32 s20, s20
	s_cbranch_execz .LBB2_190
; %bb.189:                              ;   in Loop: Header=BB2_57 Depth=2
	;;#ASMSTART
	s_waitcnt lgkmcnt(0) vmcnt(0)
	;;#ASMEND
	s_barrier_signal -1
	s_barrier_wait -1
.LBB2_190:                              ;   in Loop: Header=BB2_57 Depth=2
	s_or_b32 exec_lo, exec_lo, s20
.LBB2_191:                              ;   in Loop: Header=BB2_57 Depth=2
	s_delay_alu instid0(SALU_CYCLE_1) | instskip(NEXT) | instid1(SALU_CYCLE_1)
	s_or_b32 exec_lo, exec_lo, s13
	s_mov_b32 s13, exec_lo
	v_cmpx_ne_u32_e32 0, v9
	s_cbranch_execz .LBB2_56
; %bb.192:                              ;   in Loop: Header=BB2_57 Depth=2
	s_and_saveexec_b32 s20, s5
	s_cbranch_execz .LBB2_55
; %bb.193:                              ;   in Loop: Header=BB2_57 Depth=2
	global_wb scope:SCOPE_SYS
	s_wait_storecnt 0x0
	s_wait_loadcnt_dscnt 0x0
	flat_store_b32 v[26:27], v59 scope:SCOPE_SYS
	s_branch .LBB2_55
.LBB2_194:                              ;   in Loop: Header=BB2_47 Depth=1
	s_or_b32 exec_lo, exec_lo, s15
.LBB2_195:                              ;   in Loop: Header=BB2_47 Depth=1
	s_delay_alu instid0(SALU_CYCLE_1) | instskip(NEXT) | instid1(SALU_CYCLE_1)
	s_or_b32 exec_lo, exec_lo, s14
	s_mov_b32 s14, exec_lo
	v_cmpx_gt_i32_e32 2, v9
	s_cbranch_execz .LBB2_269
; %bb.196:                              ;   in Loop: Header=BB2_47 Depth=1
	v_cmp_eq_u32_e64 s16, 0, v9
	s_mov_b32 s15, 0
	s_branch .LBB2_199
.LBB2_197:                              ;   in Loop: Header=BB2_199 Depth=2
	s_wait_xcnt 0x0
	s_or_b32 exec_lo, exec_lo, s16
	v_add_nc_u64_e32 v[86:87], 2, v[86:87]
	global_wb scope:SCOPE_SYS
	s_wait_storecnt 0x0
	s_wait_loadcnt_dscnt 0x0
	flat_store_b64 v[20:21], v[86:87] scope:SCOPE_SYS
.LBB2_198:                              ;   in Loop: Header=BB2_199 Depth=2
	s_wait_xcnt 0x0
	s_or_b32 exec_lo, exec_lo, s13
	v_add_nc_u32_e32 v10, v8, v10
	s_mov_b32 s16, 0
	s_and_not1_b32 exec_lo, exec_lo, s15
	s_cbranch_execz .LBB2_268
.LBB2_199:                              ;   Parent Loop BB2_47 Depth=1
                                        ; =>  This Loop Header: Depth=2
                                        ;       Child Loop BB2_205 Depth 3
                                        ;       Child Loop BB2_229 Depth 3
	;; [unrolled: 1-line block ×3, first 2 shown]
	s_delay_alu instid0(VALU_DEP_1) | instskip(SKIP_2) | instid1(VALU_DEP_2)
	v_sub_nc_u32_e32 v9, v3, v10
	v_and_b32_e32 v11, 8, v30
	s_mov_b32 s17, exec_lo
	v_min_i32_e32 v8, v8, v9
	s_delay_alu instid0(VALU_DEP_2)
	v_cmpx_ne_u32_e32 0, v11
	s_cbranch_execz .LBB2_221
; %bb.200:                              ;   in Loop: Header=BB2_199 Depth=2
	s_wait_loadcnt_dscnt 0x1
	v_add_nc_u64_e32 v[102:103], 8, v[28:29]
	v_add_nc_u64_e32 v[100:101], 2, v[86:87]
	s_mov_b32 s20, exec_lo
	s_delay_alu instid0(VALU_DEP_1)
	v_cmpx_lt_u64_e64 v[102:103], v[100:101]
	s_cbranch_execz .LBB2_212
; %bb.201:                              ;   in Loop: Header=BB2_199 Depth=2
	v_and_b32_e32 v9, 64, v30
	s_mov_b32 s29, 0
	s_mov_b32 s63, 0
                                        ; implicit-def: $sgpr60
                                        ; implicit-def: $sgpr61
                                        ; implicit-def: $sgpr62
	s_delay_alu instid0(VALU_DEP_1)
	v_cmp_eq_u32_e32 vcc_lo, 0, v9
	s_branch .LBB2_205
.LBB2_202:                              ;   in Loop: Header=BB2_205 Depth=3
	s_wait_loadcnt_dscnt 0x0
	v_add_nc_u64_e32 v[102:103], 8, v[28:29]
	s_or_b32 s74, s74, exec_lo
	s_delay_alu instid0(VALU_DEP_1)
	v_cmp_ge_u64_e64 s13, v[102:103], v[100:101]
	s_or_not1_b32 s73, s13, exec_lo
.LBB2_203:                              ;   in Loop: Header=BB2_205 Depth=3
	s_or_b32 exec_lo, exec_lo, s76
	s_delay_alu instid0(SALU_CYCLE_1)
	s_and_not1_b32 s13, s62, exec_lo
	s_and_b32 s62, s74, exec_lo
	s_and_not1_b32 s61, s61, exec_lo
	s_and_b32 s73, s73, exec_lo
	s_or_b32 s62, s13, s62
	s_or_b32 s61, s61, s73
.LBB2_204:                              ;   in Loop: Header=BB2_205 Depth=3
	s_or_b32 exec_lo, exec_lo, s72
	s_delay_alu instid0(SALU_CYCLE_1) | instskip(NEXT) | instid1(SALU_CYCLE_1)
	s_and_b32 s13, exec_lo, s61
	s_or_b32 s29, s13, s29
	s_and_not1_b32 s13, s60, exec_lo
	s_and_b32 s60, s62, exec_lo
	s_delay_alu instid0(SALU_CYCLE_1)
	s_or_b32 s60, s13, s60
	s_and_not1_b32 exec_lo, exec_lo, s29
	s_cbranch_execz .LBB2_209
.LBB2_205:                              ;   Parent Loop BB2_47 Depth=1
                                        ;     Parent Loop BB2_199 Depth=2
                                        ; =>    This Inner Loop Header: Depth=3
	s_sleep 1
	s_wait_loadcnt_dscnt 0x0
	flat_load_b64 v[28:29], v[20:21] scope:SCOPE_SYS
	s_or_b32 s62, s62, exec_lo
	s_or_b32 s61, s61, exec_lo
                                        ; implicit-def: $vgpr9
	s_wait_xcnt 0x0
	s_and_saveexec_b32 s72, vcc_lo
	s_cbranch_execz .LBB2_204
; %bb.206:                              ;   in Loop: Header=BB2_205 Depth=3
	s_cmp_lt_i32 s63, 0x270f
	s_mov_b32 s73, -1
	s_cselect_b32 s75, -1, 0
	s_cmp_gt_i32 s63, 0x270e
	s_cbranch_scc0 .LBB2_208
; %bb.207:                              ;   in Loop: Header=BB2_205 Depth=3
	s_trap 2
	ds_load_b64 v[102:103], v0
	s_and_not1_b32 s63, s75, exec_lo
	s_mov_b32 s74, 0
	s_wait_storecnt 0x0
	s_wait_loadcnt_dscnt 0x0
	flat_load_b32 v9, v[102:103] scope:SCOPE_SYS
	s_wait_loadcnt_dscnt 0x0
	global_inv scope:SCOPE_SYS
	v_cmp_eq_u32_e64 s13, 0, v9
	s_and_b32 s13, s13, exec_lo
	s_delay_alu instid0(SALU_CYCLE_1)
	s_or_b32 s75, s63, s13
	s_mov_b32 s63, 0
	s_and_saveexec_b32 s76, s75
	s_cbranch_execz .LBB2_203
	s_branch .LBB2_202
.LBB2_208:                              ;   in Loop: Header=BB2_205 Depth=3
	s_add_co_i32 s63, s63, 1
	s_mov_b32 s74, -1
                                        ; implicit-def: $vgpr9
	s_and_saveexec_b32 s76, s75
	s_cbranch_execz .LBB2_203
	s_branch .LBB2_202
.LBB2_209:                              ;   in Loop: Header=BB2_199 Depth=2
	s_or_b32 exec_lo, exec_lo, s29
	s_xor_b32 s13, s60, -1
	s_delay_alu instid0(SALU_CYCLE_1) | instskip(NEXT) | instid1(SALU_CYCLE_1)
	s_and_saveexec_b32 s29, s13
	s_xor_b32 s13, exec_lo, s29
	s_cbranch_execz .LBB2_211
; %bb.210:                              ;   in Loop: Header=BB2_199 Depth=2
	v_or_b32_e32 v30, 64, v30
	s_wait_storecnt 0x0
	s_wait_loadcnt_dscnt 0x0
	ds_store_b32 v0, v9
	s_trap 2
.LBB2_211:                              ;   in Loop: Header=BB2_199 Depth=2
	s_or_b32 exec_lo, exec_lo, s13
.LBB2_212:                              ;   in Loop: Header=BB2_199 Depth=2
	s_delay_alu instid0(SALU_CYCLE_1) | instskip(SKIP_4) | instid1(VALU_DEP_1)
	s_or_b32 exec_lo, exec_lo, s20
	v_and_b32_e32 v9, 0x100, v30
	s_mov_b32 s20, 0
	s_mov_b32 s13, exec_lo
	;;#ASMSTART
	s_wakeup
	;;#ASMEND
                                        ; implicit-def: $vgpr102_vgpr103
                                        ; implicit-def: $vgpr112_vgpr113
	v_cmpx_ne_u32_e32 0, v9
	s_xor_b32 s13, exec_lo, s13
	s_cbranch_execz .LBB2_233
; %bb.213:                              ;   in Loop: Header=BB2_199 Depth=2
	v_dual_ashrrev_i32 v9, 31, v8 :: v_dual_bitop2_b32 v102, 7, v86 bitop3:0x40
	s_mov_b32 s20, -1
	s_mov_b32 s29, exec_lo
	s_delay_alu instid0(VALU_DEP_1) | instskip(NEXT) | instid1(VALU_DEP_2)
	v_mad_nc_u64_u32 v[86:87], v102, 24, v[6:7]
	v_lshlrev_b64_e32 v[112:113], 2, v[8:9]
	s_clause 0x1
	flat_load_b32 v11, v[86:87]
	flat_store_b64 v[86:87], v[112:113] offset:8
                                        ; implicit-def: $vgpr112_vgpr113
	s_wait_loadcnt_dscnt 0x1
	v_cmpx_eq_u32_e32 1, v11
	s_cbranch_execz .LBB2_215
; %bb.214:                              ;   in Loop: Header=BB2_199 Depth=2
	flat_load_b32 v86, v[86:87] offset:4 scope:SCOPE_SYS
	s_xor_b32 s20, exec_lo, -1
	s_wait_loadcnt_dscnt 0x0
	v_ashrrev_i32_e32 v87, 31, v86
	s_delay_alu instid0(VALU_DEP_1)
	v_lshrrev_b64 v[112:113], 2, v[86:87]
.LBB2_215:                              ;   in Loop: Header=BB2_199 Depth=2
	s_or_b32 exec_lo, exec_lo, s29
	v_mov_b32_e32 v103, v2
	s_and_b32 s20, s20, exec_lo
                                        ; implicit-def: $vgpr86_vgpr87
	s_and_not1_saveexec_b32 s13, s13
	s_cbranch_execnz .LBB2_234
.LBB2_216:                              ;   in Loop: Header=BB2_199 Depth=2
	s_or_b32 exec_lo, exec_lo, s13
	s_and_saveexec_b32 s13, s20
.LBB2_217:                              ;   in Loop: Header=BB2_199 Depth=2
	v_mul_u64_e32 v[112:113], v[102:103], v[22:23]
.LBB2_218:                              ;   in Loop: Header=BB2_199 Depth=2
	s_or_b32 exec_lo, exec_lo, s13
	v_and_b32_e32 v9, 0x2000, v30
	s_delay_alu instid0(VALU_DEP_2)
	v_lshl_add_u64 v[86:87], v[112:113], 2, v[24:25]
	s_mov_b32 s13, exec_lo
	ds_store_b64 v0, v[86:87] offset:784
	v_cmpx_ne_u32_e32 0, v9
	s_cbranch_execz .LBB2_220
; %bb.219:                              ;   in Loop: Header=BB2_199 Depth=2
	ds_load_b64 v[86:87], v0 offset:872
	s_wait_dscnt 0x0
	v_add_nc_u64_e32 v[86:87], 1, v[86:87]
	ds_store_b64 v0, v[86:87] offset:872
.LBB2_220:                              ;   in Loop: Header=BB2_199 Depth=2
	s_or_b32 exec_lo, exec_lo, s13
	v_mov_b64_e32 v[86:87], v[100:101]
.LBB2_221:                              ;   in Loop: Header=BB2_199 Depth=2
	s_or_b32 exec_lo, exec_lo, s17
	s_xor_b32 s13, s16, -1
	s_delay_alu instid0(SALU_CYCLE_1) | instskip(NEXT) | instid1(SALU_CYCLE_1)
	s_and_b32 s13, exec_lo, s13
	s_or_b32 s15, s13, s15
	s_and_saveexec_b32 s13, s2
	s_cbranch_execz .LBB2_242
; %bb.222:                              ;   in Loop: Header=BB2_199 Depth=2
	s_and_saveexec_b32 s16, s3
	s_delay_alu instid0(SALU_CYCLE_1)
	s_xor_b32 s16, exec_lo, s16
	s_cbranch_execz .LBB2_239
; %bb.223:                              ;   in Loop: Header=BB2_199 Depth=2
	s_and_saveexec_b32 s17, s6
	s_cbranch_execz .LBB2_238
; %bb.224:                              ;   in Loop: Header=BB2_199 Depth=2
	s_mov_b32 s29, exec_lo
	s_mov_b32 s20, exec_lo
	v_mbcnt_lo_u32_b32 v9, s29, 0
	global_wb scope:SCOPE_DEV
	s_wait_storecnt 0x0
	s_wait_loadcnt_dscnt 0x0
	global_inv scope:SCOPE_DEV
	v_cmpx_eq_u32_e32 0, v9
	s_cbranch_execz .LBB2_226
; %bb.225:                              ;   in Loop: Header=BB2_199 Depth=2
	s_bcnt1_i32_b32 s29, s29
	s_delay_alu instid0(SALU_CYCLE_1)
	v_dual_mov_b32 v101, v2 :: v_dual_mov_b32 v100, s29
	s_wait_loadcnt 0x0
	ds_add_u64 v0, v[100:101]
	s_trap 2
.LBB2_226:                              ;   in Loop: Header=BB2_199 Depth=2
	s_or_b32 exec_lo, exec_lo, s20
	s_trap 2
	ds_load_b64 v[100:101], v0
	s_wait_dscnt 0x0
	v_add_nc_u64_e32 v[12:13], v[12:13], v[32:33]
	s_mov_b32 s20, exec_lo
	s_delay_alu instid0(VALU_DEP_1)
	v_cmpx_lt_u64_e64 v[100:101], v[12:13]
	s_cbranch_execz .LBB2_237
; %bb.227:                              ;   in Loop: Header=BB2_199 Depth=2
	s_mov_b32 s29, 0
	s_mov_b32 s62, 0
                                        ; implicit-def: $sgpr60
                                        ; implicit-def: $sgpr61
	s_branch .LBB2_229
.LBB2_228:                              ;   in Loop: Header=BB2_229 Depth=3
	s_or_b32 exec_lo, exec_lo, s72
	s_delay_alu instid0(SALU_CYCLE_1) | instskip(NEXT) | instid1(SALU_CYCLE_1)
	s_and_b32 s63, exec_lo, s73
	s_or_b32 s29, s63, s29
	s_and_not1_b32 s60, s60, exec_lo
	s_and_b32 s63, s61, exec_lo
	s_delay_alu instid0(SALU_CYCLE_1)
	s_or_b32 s60, s60, s63
	s_and_not1_b32 exec_lo, exec_lo, s29
	s_cbranch_execz .LBB2_235
.LBB2_229:                              ;   Parent Loop BB2_47 Depth=1
                                        ;     Parent Loop BB2_199 Depth=2
                                        ; =>    This Inner Loop Header: Depth=3
	s_add_co_i32 s62, s62, 1
	s_delay_alu instid0(SALU_CYCLE_1) | instskip(SKIP_1) | instid1(SALU_CYCLE_1)
	s_cmp_lg_u32 s62, 0x2710
	s_cselect_b32 s63, -1, 0
	s_and_b32 vcc_lo, exec_lo, s63
	s_cbranch_vccz .LBB2_231
; %bb.230:                              ;   in Loop: Header=BB2_229 Depth=3
	s_mov_b32 s73, -1
	s_or_b32 s61, s61, exec_lo
	s_and_saveexec_b32 s72, s63
	s_cbranch_execz .LBB2_228
	s_branch .LBB2_232
.LBB2_231:                              ;   in Loop: Header=BB2_229 Depth=3
	s_trap 2
	ds_load_b64 v[100:101], v0
	s_and_not1_b32 s63, s63, exec_lo
	s_mov_b32 s62, 0
	s_wait_loadcnt_dscnt 0x0
	flat_load_b32 v9, v[100:101] scope:SCOPE_SYS
	s_wait_loadcnt_dscnt 0x0
	global_inv scope:SCOPE_SYS
	v_cmp_eq_u32_e32 vcc_lo, 0, v9
	s_and_b32 s72, vcc_lo, exec_lo
	s_delay_alu instid0(SALU_CYCLE_1)
	s_or_b32 s63, s63, s72
	s_mov_b32 s73, -1
	s_or_b32 s61, s61, exec_lo
	s_and_saveexec_b32 s72, s63
	s_cbranch_execz .LBB2_228
.LBB2_232:                              ;   in Loop: Header=BB2_229 Depth=3
	s_sleep 1
	s_trap 2
	ds_load_b64 v[100:101], v0
	s_wait_dscnt 0x0
	s_and_not1_b32 s61, s61, exec_lo
	v_cmp_ge_u64_e32 vcc_lo, v[100:101], v[12:13]
	s_or_not1_b32 s73, vcc_lo, exec_lo
	s_branch .LBB2_228
.LBB2_233:                              ;   in Loop: Header=BB2_199 Depth=2
	s_and_not1_saveexec_b32 s13, s13
	s_cbranch_execz .LBB2_216
.LBB2_234:                              ;   in Loop: Header=BB2_199 Depth=2
	v_dual_mov_b32 v103, v2 :: v_dual_bitop2_b32 v102, 7, v86 bitop3:0x40
	s_or_b32 s20, s20, exec_lo
	s_or_b32 exec_lo, exec_lo, s13
	s_and_saveexec_b32 s13, s20
	s_cbranch_execnz .LBB2_217
	s_branch .LBB2_218
.LBB2_235:                              ;   in Loop: Header=BB2_199 Depth=2
	s_or_b32 exec_lo, exec_lo, s29
	s_and_saveexec_b32 s29, s60
	s_delay_alu instid0(SALU_CYCLE_1)
	s_xor_b32 s29, exec_lo, s29
	s_cbranch_execz .LBB2_237
; %bb.236:                              ;   in Loop: Header=BB2_199 Depth=2
	ds_store_b32 v0, v59
	s_trap 2
.LBB2_237:                              ;   in Loop: Header=BB2_199 Depth=2
	s_or_b32 exec_lo, exec_lo, s20
	;;#ASMSTART
	s_wakeup
	;;#ASMEND
.LBB2_238:                              ;   in Loop: Header=BB2_199 Depth=2
	s_or_b32 exec_lo, exec_lo, s17
.LBB2_239:                              ;   in Loop: Header=BB2_199 Depth=2
	s_and_not1_saveexec_b32 s16, s16
	s_cbranch_execz .LBB2_241
; %bb.240:                              ;   in Loop: Header=BB2_199 Depth=2
	global_wb scope:SCOPE_DEV
	s_wait_storecnt 0x0
	s_wait_loadcnt_dscnt 0x0
	global_inv scope:SCOPE_DEV
	s_barrier_signal -1
	s_barrier_wait -1
.LBB2_241:                              ;   in Loop: Header=BB2_199 Depth=2
	s_or_b32 exec_lo, exec_lo, s16
.LBB2_242:                              ;   in Loop: Header=BB2_199 Depth=2
	s_delay_alu instid0(SALU_CYCLE_1) | instskip(SKIP_2) | instid1(SALU_CYCLE_1)
	s_or_b32 exec_lo, exec_lo, s13
	v_and_b32_e32 v9, 16, v30
	s_and_saveexec_b32 s13, s12
	s_xor_b32 s16, exec_lo, s13
	s_cbranch_execz .LBB2_246
; %bb.243:                              ;   in Loop: Header=BB2_199 Depth=2
	s_trap 2
	ds_load_b32 v9, v0
	v_cmp_lt_i32_e32 vcc_lo, 0, v8
	s_wait_dscnt 0x0
	v_readfirstlane_b32 s13, v9
	v_and_b32_e32 v9, 16, v30
	s_cmp_eq_u32 s13, 0
	s_delay_alu instid0(VALU_DEP_1) | instskip(SKIP_3) | instid1(SALU_CYCLE_1)
	v_cmp_ne_u32_e64 s13, 0, v9
	s_cselect_b32 s17, -1, 0
	v_and_b32_e32 v9, 16, v30
	s_and_b32 s17, vcc_lo, s17
	s_and_b32 s17, s13, s17
	s_delay_alu instid0(SALU_CYCLE_1)
	s_and_saveexec_b32 s13, s17
	s_cbranch_execz .LBB2_245
; %bb.244:                              ;   in Loop: Header=BB2_199 Depth=2
	v_mov_b32_e32 v9, 1
	global_wb scope:SCOPE_SYS
	s_wait_loadcnt 0x0
	s_wait_storecnt 0x0
	global_inv scope:SCOPE_SYS
.LBB2_245:                              ;   in Loop: Header=BB2_199 Depth=2
	s_or_b32 exec_lo, exec_lo, s13
.LBB2_246:                              ;   in Loop: Header=BB2_199 Depth=2
	s_and_not1_saveexec_b32 s13, s16
	s_cbranch_execz .LBB2_265
; %bb.247:                              ;   in Loop: Header=BB2_199 Depth=2
	s_and_saveexec_b32 s16, s3
	s_delay_alu instid0(SALU_CYCLE_1)
	s_xor_b32 s16, exec_lo, s16
	s_cbranch_execz .LBB2_262
; %bb.248:                              ;   in Loop: Header=BB2_199 Depth=2
	s_and_saveexec_b32 s17, s6
	s_cbranch_execz .LBB2_261
; %bb.249:                              ;   in Loop: Header=BB2_199 Depth=2
	s_mov_b32 s29, exec_lo
	s_mov_b32 s20, exec_lo
	v_mbcnt_lo_u32_b32 v11, s29, 0
	;;#ASMSTART
	s_waitcnt lgkmcnt(0) vmcnt(0)
	;;#ASMEND
	s_delay_alu instid0(VALU_DEP_1)
	v_cmpx_eq_u32_e32 0, v11
	s_cbranch_execz .LBB2_251
; %bb.250:                              ;   in Loop: Header=BB2_199 Depth=2
	s_bcnt1_i32_b32 s29, s29
	s_delay_alu instid0(SALU_CYCLE_1)
	v_dual_mov_b32 v101, v2 :: v_dual_mov_b32 v100, s29
	s_wait_storecnt 0x0
	s_wait_loadcnt_dscnt 0x0
	ds_add_u64 v0, v[100:101]
	s_trap 2
.LBB2_251:                              ;   in Loop: Header=BB2_199 Depth=2
	s_or_b32 exec_lo, exec_lo, s20
	s_trap 2
	ds_load_b64 v[100:101], v0
	s_wait_dscnt 0x0
	v_add_nc_u64_e32 v[12:13], v[12:13], v[32:33]
	s_mov_b32 s20, exec_lo
	s_delay_alu instid0(VALU_DEP_1)
	v_cmpx_lt_u64_e64 v[100:101], v[12:13]
	s_cbranch_execz .LBB2_260
; %bb.252:                              ;   in Loop: Header=BB2_199 Depth=2
	s_mov_b32 s29, 0
	s_mov_b32 s62, 0
                                        ; implicit-def: $sgpr60
                                        ; implicit-def: $sgpr61
	s_branch .LBB2_254
.LBB2_253:                              ;   in Loop: Header=BB2_254 Depth=3
	s_or_b32 exec_lo, exec_lo, s72
	s_delay_alu instid0(SALU_CYCLE_1) | instskip(NEXT) | instid1(SALU_CYCLE_1)
	s_and_b32 s63, exec_lo, s73
	s_or_b32 s29, s63, s29
	s_and_not1_b32 s60, s60, exec_lo
	s_and_b32 s63, s61, exec_lo
	s_delay_alu instid0(SALU_CYCLE_1)
	s_or_b32 s60, s60, s63
	s_and_not1_b32 exec_lo, exec_lo, s29
	s_cbranch_execz .LBB2_258
.LBB2_254:                              ;   Parent Loop BB2_47 Depth=1
                                        ;     Parent Loop BB2_199 Depth=2
                                        ; =>    This Inner Loop Header: Depth=3
	s_add_co_i32 s62, s62, 1
	s_delay_alu instid0(SALU_CYCLE_1) | instskip(SKIP_1) | instid1(SALU_CYCLE_1)
	s_cmp_lg_u32 s62, 0x2710
	s_cselect_b32 s63, -1, 0
	s_and_b32 vcc_lo, exec_lo, s63
	s_cbranch_vccz .LBB2_256
; %bb.255:                              ;   in Loop: Header=BB2_254 Depth=3
	s_mov_b32 s73, -1
	s_or_b32 s61, s61, exec_lo
	s_and_saveexec_b32 s72, s63
	s_cbranch_execz .LBB2_253
	s_branch .LBB2_257
.LBB2_256:                              ;   in Loop: Header=BB2_254 Depth=3
	s_trap 2
	ds_load_b64 v[100:101], v0
	s_and_not1_b32 s63, s63, exec_lo
	s_mov_b32 s62, 0
	s_wait_storecnt 0x0
	s_wait_loadcnt_dscnt 0x0
	flat_load_b32 v11, v[100:101] scope:SCOPE_SYS
	s_wait_loadcnt_dscnt 0x0
	global_inv scope:SCOPE_SYS
	v_cmp_eq_u32_e32 vcc_lo, 0, v11
	s_and_b32 s72, vcc_lo, exec_lo
	s_delay_alu instid0(SALU_CYCLE_1)
	s_or_b32 s63, s63, s72
	s_mov_b32 s73, -1
	s_or_b32 s61, s61, exec_lo
	s_and_saveexec_b32 s72, s63
	s_cbranch_execz .LBB2_253
.LBB2_257:                              ;   in Loop: Header=BB2_254 Depth=3
	s_sleep 1
	s_trap 2
	ds_load_b64 v[100:101], v0
	s_wait_dscnt 0x0
	s_and_not1_b32 s61, s61, exec_lo
	v_cmp_ge_u64_e32 vcc_lo, v[100:101], v[12:13]
	s_or_not1_b32 s73, vcc_lo, exec_lo
	s_branch .LBB2_253
.LBB2_258:                              ;   in Loop: Header=BB2_199 Depth=2
	s_or_b32 exec_lo, exec_lo, s29
	s_and_saveexec_b32 s29, s60
	s_delay_alu instid0(SALU_CYCLE_1)
	s_xor_b32 s29, exec_lo, s29
	s_cbranch_execz .LBB2_260
; %bb.259:                              ;   in Loop: Header=BB2_199 Depth=2
	ds_store_b32 v0, v59
	s_trap 2
.LBB2_260:                              ;   in Loop: Header=BB2_199 Depth=2
	s_or_b32 exec_lo, exec_lo, s20
	;;#ASMSTART
	s_wakeup
	;;#ASMEND
.LBB2_261:                              ;   in Loop: Header=BB2_199 Depth=2
	s_or_b32 exec_lo, exec_lo, s17
.LBB2_262:                              ;   in Loop: Header=BB2_199 Depth=2
	s_and_not1_saveexec_b32 s16, s16
	s_cbranch_execz .LBB2_264
; %bb.263:                              ;   in Loop: Header=BB2_199 Depth=2
	;;#ASMSTART
	s_waitcnt lgkmcnt(0) vmcnt(0)
	;;#ASMEND
	s_barrier_signal -1
	s_barrier_wait -1
.LBB2_264:                              ;   in Loop: Header=BB2_199 Depth=2
	s_or_b32 exec_lo, exec_lo, s16
.LBB2_265:                              ;   in Loop: Header=BB2_199 Depth=2
	s_delay_alu instid0(SALU_CYCLE_1) | instskip(NEXT) | instid1(SALU_CYCLE_1)
	s_or_b32 exec_lo, exec_lo, s13
	s_mov_b32 s13, exec_lo
	v_cmpx_ne_u32_e32 0, v9
	s_cbranch_execz .LBB2_198
; %bb.266:                              ;   in Loop: Header=BB2_199 Depth=2
	s_and_saveexec_b32 s16, s5
	s_cbranch_execz .LBB2_197
; %bb.267:                              ;   in Loop: Header=BB2_199 Depth=2
	global_wb scope:SCOPE_SYS
	s_wait_storecnt 0x0
	s_wait_loadcnt_dscnt 0x0
	flat_store_b32 v[26:27], v59 scope:SCOPE_SYS
	s_branch .LBB2_197
.LBB2_268:                              ;   in Loop: Header=BB2_47 Depth=1
	s_or_b32 exec_lo, exec_lo, s15
.LBB2_269:                              ;   in Loop: Header=BB2_47 Depth=1
	s_delay_alu instid0(SALU_CYCLE_1) | instskip(NEXT) | instid1(SALU_CYCLE_1)
	s_or_b32 exec_lo, exec_lo, s14
	s_and_not1_b32 vcc_lo, exec_lo, s46
	s_cbranch_vccnz .LBB2_492
; %bb.270:                              ;   in Loop: Header=BB2_47 Depth=1
	s_mov_b32 s14, 2
	s_branch .LBB2_273
.LBB2_271:                              ;   in Loop: Header=BB2_273 Depth=2
	s_or_b32 exec_lo, exec_lo, s16
.LBB2_272:                              ;   in Loop: Header=BB2_273 Depth=2
	s_delay_alu instid0(SALU_CYCLE_1) | instskip(SKIP_1) | instid1(SALU_CYCLE_1)
	s_or_b32 exec_lo, exec_lo, s15
	s_add_co_i32 s14, s14, 1
	s_cmp_eq_u32 s14, s18
	s_cbranch_scc1 .LBB2_492
.LBB2_273:                              ;   Parent Loop BB2_47 Depth=1
                                        ; =>  This Loop Header: Depth=2
                                        ;       Child Loop BB2_276 Depth 3
                                        ;         Child Loop BB2_284 Depth 4
                                        ;         Child Loop BB2_312 Depth 4
	;; [unrolled: 1-line block ×9, first 2 shown]
                                        ;       Child Loop BB2_420 Depth 3
                                        ;         Child Loop BB2_426 Depth 4
                                        ;         Child Loop BB2_454 Depth 4
	;; [unrolled: 1-line block ×3, first 2 shown]
	s_sub_co_i32 s13, s44, s14
	v_mov_b32_e32 v10, 0
	s_cmp_ge_i32 s13, s18
	s_cselect_b32 s15, s18, 0
	s_delay_alu instid0(SALU_CYCLE_1) | instskip(NEXT) | instid1(SALU_CYCLE_1)
	s_sub_co_i32 s16, s13, s15
	s_ashr_i32 s17, s16, 31
	s_delay_alu instid0(SALU_CYCLE_1) | instskip(SKIP_1) | instid1(VALU_DEP_1)
	v_mul_u64_e32 v[100:101], s[16:17], v[84:85]
	s_mov_b32 s16, 0
	v_sub_nc_u64_e32 v[8:9], v[96:97], v[100:101]
	s_delay_alu instid0(VALU_DEP_1) | instskip(NEXT) | instid1(VALU_DEP_1)
	v_min_i64 v[8:9], v[84:85], v[8:9]
	v_max_i32_e32 v40, 0, v8
	v_cmp_lt_i32_e32 vcc_lo, 0, v8
	s_delay_alu instid0(VALU_DEP_2) | instskip(SKIP_1) | instid1(VALU_DEP_1)
	v_add_nc_u32_e32 v3, 31, v40
	s_and_b32 s13, s57, vcc_lo
	v_lshrrev_b32_e32 v3, 1, v3
	s_delay_alu instid0(VALU_DEP_1) | instskip(NEXT) | instid1(VALU_DEP_1)
	v_and_b32_e32 v9, 0x3ffffff0, v3
	v_dual_mov_b32 v3, 0 :: v_dual_max_i32 v8, s45, v9
	s_and_saveexec_b32 s15, s13
	s_cbranch_execz .LBB2_417
; %bb.274:                              ;   in Loop: Header=BB2_273 Depth=2
	v_mov_b32_e32 v10, 0
	s_mov_b32 s20, 1
	s_mov_b32 s17, -1
	s_branch .LBB2_276
.LBB2_275:                              ;   in Loop: Header=BB2_276 Depth=3
	s_wait_xcnt 0x0
	s_or_b32 exec_lo, exec_lo, s13
	v_dual_mov_b32 v3, s20 :: v_dual_add_nc_u32 v10, v8, v10
	s_xor_b32 s13, s17, -1
	s_mov_b32 s17, 0
	s_mov_b32 s20, 2
	s_delay_alu instid0(VALU_DEP_1) | instskip(SKIP_1) | instid1(SALU_CYCLE_1)
	v_cmp_ge_i32_e32 vcc_lo, v10, v40
	s_or_b32 s13, s13, vcc_lo
	s_and_b32 s13, exec_lo, s13
	s_delay_alu instid0(SALU_CYCLE_1) | instskip(NEXT) | instid1(SALU_CYCLE_1)
	s_or_b32 s16, s13, s16
	s_and_not1_b32 exec_lo, exec_lo, s16
	s_cbranch_execz .LBB2_416
.LBB2_276:                              ;   Parent Loop BB2_47 Depth=1
                                        ;     Parent Loop BB2_273 Depth=2
                                        ; =>    This Loop Header: Depth=3
                                        ;         Child Loop BB2_284 Depth 4
                                        ;         Child Loop BB2_312 Depth 4
	;; [unrolled: 1-line block ×9, first 2 shown]
	s_and_saveexec_b32 s13, s0
	s_cbranch_execz .LBB2_278
; %bb.277:                              ;   in Loop: Header=BB2_276 Depth=3
	s_trap 2
	ds_load_b64 v[102:103], v0
	v_ashrrev_i32_e32 v11, 31, v10
	s_wait_dscnt 0x0
	v_lshl_add_u64 v[102:103], v[98:99], 2, v[102:103]
	s_delay_alu instid0(VALU_DEP_1) | instskip(NEXT) | instid1(VALU_DEP_1)
	v_lshl_add_u64 v[102:103], v[100:101], 2, v[102:103]
	v_lshl_add_u64 v[102:103], v[10:11], 2, v[102:103]
	ds_store_b64 v0, v[102:103]
	ds_store_b64 v0, v[34:35]
.LBB2_278:                              ;   in Loop: Header=BB2_276 Depth=3
	s_or_b32 exec_lo, exec_lo, s13
	v_sub_nc_u32_e32 v3, v40, v10
	v_and_b32_e32 v9, 12, v30
	s_mov_b32 s29, exec_lo
	s_delay_alu instid0(VALU_DEP_2) | instskip(NEXT) | instid1(VALU_DEP_2)
	v_min_i32_e32 v8, v8, v3
	v_cmpx_ne_u32_e32 0, v9
	s_cbranch_execz .LBB2_304
; %bb.279:                              ;   in Loop: Header=BB2_276 Depth=3
	v_dual_mov_b32 v113, v2 :: v_dual_bitop2_b32 v112, 8, v30 bitop3:0x40
	v_add_nc_u64_e32 v[102:103], 2, v[86:87]
	s_mov_b32 s60, exec_lo
	s_wait_loadcnt_dscnt 0x1
	s_delay_alu instid0(VALU_DEP_2) | instskip(NEXT) | instid1(VALU_DEP_1)
	v_add_nc_u64_e32 v[114:115], v[28:29], v[112:113]
	v_cmpx_lt_u64_e64 v[114:115], v[102:103]
	s_cbranch_execz .LBB2_291
; %bb.280:                              ;   in Loop: Header=BB2_276 Depth=3
	v_and_b32_e32 v3, 64, v30
	s_mov_b32 s61, 0
	s_mov_b32 s73, 0
                                        ; implicit-def: $sgpr62
                                        ; implicit-def: $sgpr63
                                        ; implicit-def: $sgpr72
	s_delay_alu instid0(VALU_DEP_1)
	v_cmp_eq_u32_e32 vcc_lo, 0, v3
	s_branch .LBB2_284
.LBB2_281:                              ;   in Loop: Header=BB2_284 Depth=4
	s_wait_loadcnt_dscnt 0x0
	v_add_nc_u64_e32 v[114:115], v[28:29], v[112:113]
	s_or_b32 s76, s76, exec_lo
	s_delay_alu instid0(VALU_DEP_1)
	v_cmp_ge_u64_e64 s13, v[114:115], v[102:103]
	s_or_not1_b32 s75, s13, exec_lo
.LBB2_282:                              ;   in Loop: Header=BB2_284 Depth=4
	s_or_b32 exec_lo, exec_lo, s78
	s_delay_alu instid0(SALU_CYCLE_1)
	s_and_not1_b32 s13, s72, exec_lo
	s_and_b32 s72, s76, exec_lo
	s_and_not1_b32 s63, s63, exec_lo
	s_and_b32 s75, s75, exec_lo
	s_or_b32 s72, s13, s72
	s_or_b32 s63, s63, s75
.LBB2_283:                              ;   in Loop: Header=BB2_284 Depth=4
	s_or_b32 exec_lo, exec_lo, s74
	s_delay_alu instid0(SALU_CYCLE_1) | instskip(NEXT) | instid1(SALU_CYCLE_1)
	s_and_b32 s13, exec_lo, s63
	s_or_b32 s61, s13, s61
	s_and_not1_b32 s13, s62, exec_lo
	s_and_b32 s62, s72, exec_lo
	s_delay_alu instid0(SALU_CYCLE_1)
	s_or_b32 s62, s13, s62
	s_and_not1_b32 exec_lo, exec_lo, s61
	s_cbranch_execz .LBB2_288
.LBB2_284:                              ;   Parent Loop BB2_47 Depth=1
                                        ;     Parent Loop BB2_273 Depth=2
                                        ;       Parent Loop BB2_276 Depth=3
                                        ; =>      This Inner Loop Header: Depth=4
	s_sleep 1
	s_wait_loadcnt_dscnt 0x0
	flat_load_b64 v[28:29], v[20:21] scope:SCOPE_SYS
	s_or_b32 s72, s72, exec_lo
	s_or_b32 s63, s63, exec_lo
                                        ; implicit-def: $vgpr3
	s_wait_xcnt 0x0
	s_and_saveexec_b32 s74, vcc_lo
	s_cbranch_execz .LBB2_283
; %bb.285:                              ;   in Loop: Header=BB2_284 Depth=4
	s_cmp_lt_i32 s73, 0x270f
	s_mov_b32 s75, -1
	s_cselect_b32 s77, -1, 0
	s_cmp_gt_i32 s73, 0x270e
	s_cbranch_scc0 .LBB2_287
; %bb.286:                              ;   in Loop: Header=BB2_284 Depth=4
	s_trap 2
	ds_load_b64 v[114:115], v0
	s_and_not1_b32 s73, s77, exec_lo
	s_mov_b32 s76, 0
	s_wait_storecnt 0x0
	s_wait_loadcnt_dscnt 0x0
	flat_load_b32 v3, v[114:115] scope:SCOPE_SYS
	s_wait_loadcnt_dscnt 0x0
	global_inv scope:SCOPE_SYS
	v_cmp_eq_u32_e64 s13, 0, v3
	s_and_b32 s13, s13, exec_lo
	s_delay_alu instid0(SALU_CYCLE_1)
	s_or_b32 s77, s73, s13
	s_mov_b32 s73, 0
	s_and_saveexec_b32 s78, s77
	s_cbranch_execz .LBB2_282
	s_branch .LBB2_281
.LBB2_287:                              ;   in Loop: Header=BB2_284 Depth=4
	s_add_co_i32 s73, s73, 1
	s_mov_b32 s76, -1
                                        ; implicit-def: $vgpr3
	s_and_saveexec_b32 s78, s77
	s_cbranch_execz .LBB2_282
	s_branch .LBB2_281
.LBB2_288:                              ;   in Loop: Header=BB2_276 Depth=3
	s_or_b32 exec_lo, exec_lo, s61
	s_xor_b32 s13, s62, -1
	s_delay_alu instid0(SALU_CYCLE_1) | instskip(NEXT) | instid1(SALU_CYCLE_1)
	s_and_saveexec_b32 s61, s13
	s_xor_b32 s13, exec_lo, s61
	s_cbranch_execz .LBB2_290
; %bb.289:                              ;   in Loop: Header=BB2_276 Depth=3
	v_or_b32_e32 v30, 64, v30
	s_wait_storecnt 0x0
	s_wait_loadcnt_dscnt 0x0
	ds_store_b32 v0, v3
	s_trap 2
.LBB2_290:                              ;   in Loop: Header=BB2_276 Depth=3
	s_or_b32 exec_lo, exec_lo, s13
.LBB2_291:                              ;   in Loop: Header=BB2_276 Depth=3
	s_delay_alu instid0(SALU_CYCLE_1) | instskip(SKIP_3) | instid1(VALU_DEP_1)
	s_or_b32 exec_lo, exec_lo, s60
	v_and_b32_e32 v3, 0x108, v30
	s_mov_b32 s13, exec_lo
	;;#ASMSTART
	s_wakeup
	;;#ASMEND
                                        ; implicit-def: $vgpr114_vgpr115
	v_cmpx_ne_u32_e32 0x108, v3
	s_xor_b32 s13, exec_lo, s13
; %bb.292:                              ;   in Loop: Header=BB2_276 Depth=3
	v_dual_mov_b32 v115, v2 :: v_dual_bitop2_b32 v114, 7, v86 bitop3:0x40
                                        ; implicit-def: $vgpr86_vgpr87
; %bb.293:                              ;   in Loop: Header=BB2_276 Depth=3
	s_and_not1_saveexec_b32 s13, s13
	s_cbranch_execz .LBB2_295
; %bb.294:                              ;   in Loop: Header=BB2_276 Depth=3
	v_dual_ashrrev_i32 v9, 31, v8 :: v_dual_bitop2_b32 v114, 7, v86 bitop3:0x40
	v_mov_b32_e32 v115, v2
	s_delay_alu instid0(VALU_DEP_2) | instskip(NEXT) | instid1(VALU_DEP_3)
	v_mad_nc_u64_u32 v[86:87], v114, 24, v[6:7]
	v_lshlrev_b64_e32 v[116:117], 2, v[8:9]
	flat_store_b64 v[86:87], v[116:117] offset:8
.LBB2_295:                              ;   in Loop: Header=BB2_276 Depth=3
	s_wait_xcnt 0x0
	s_or_b32 exec_lo, exec_lo, s13
	v_and_b32_e32 v3, 0x100, v30
	s_mov_b32 s13, -1
	s_mov_b32 s60, exec_lo
                                        ; implicit-def: $vgpr86_vgpr87
	s_delay_alu instid0(VALU_DEP_1)
	v_cmpx_ne_u32_e32 0, v3
	s_cbranch_execz .LBB2_299
; %bb.296:                              ;   in Loop: Header=BB2_276 Depth=3
	v_mad_nc_u64_u32 v[116:117], v114, 24, v[6:7]
	s_mov_b32 s61, exec_lo
                                        ; implicit-def: $vgpr86_vgpr87
	s_delay_alu instid0(VALU_DEP_1)
	v_mad_u32 v117, v115, 24, v117
	flat_load_b32 v3, v[116:117]
	s_wait_loadcnt_dscnt 0x0
	v_cmp_ne_u32_e32 vcc_lo, 1, v3
	s_wait_xcnt 0x0
	v_cmpx_eq_u32_e32 1, v3
	s_cbranch_execz .LBB2_298
; %bb.297:                              ;   in Loop: Header=BB2_276 Depth=3
	flat_load_b32 v86, v[116:117] offset:4 scope:SCOPE_SYS
	s_wait_loadcnt_dscnt 0x0
	v_ashrrev_i32_e32 v87, 31, v86
	s_delay_alu instid0(VALU_DEP_1)
	v_lshrrev_b64 v[86:87], 2, v[86:87]
.LBB2_298:                              ;   in Loop: Header=BB2_276 Depth=3
	s_wait_xcnt 0x0
	s_or_b32 exec_lo, exec_lo, s61
	s_delay_alu instid0(SALU_CYCLE_1)
	s_or_not1_b32 s13, vcc_lo, exec_lo
.LBB2_299:                              ;   in Loop: Header=BB2_276 Depth=3
	s_or_b32 exec_lo, exec_lo, s60
	s_and_saveexec_b32 s60, s13
; %bb.300:                              ;   in Loop: Header=BB2_276 Depth=3
	v_mul_u64_e32 v[86:87], v[114:115], v[22:23]
; %bb.301:                              ;   in Loop: Header=BB2_276 Depth=3
	s_or_b32 exec_lo, exec_lo, s60
	v_cmp_eq_u32_e32 vcc_lo, 0, v112
	v_and_b32_e32 v9, 0x2000, v30
	s_delay_alu instid0(VALU_DEP_3) | instskip(SKIP_2) | instid1(VALU_DEP_1)
	v_lshl_add_u64 v[86:87], v[86:87], 2, v[24:25]
	s_mov_b32 s13, exec_lo
	v_cndmask_b32_e32 v3, 0xc8, v60, vcc_lo
	v_add_nc_u32_e32 v3, v0, v3
	ds_store_b64 v3, v[86:87] offset:584
	v_cmpx_ne_u32_e32 0, v9
	s_cbranch_execz .LBB2_303
; %bb.302:                              ;   in Loop: Header=BB2_276 Depth=3
	ds_load_b64 v[86:87], v0 offset:872
	s_wait_dscnt 0x0
	v_add_nc_u64_e32 v[86:87], 1, v[86:87]
	ds_store_b64 v0, v[86:87] offset:872
.LBB2_303:                              ;   in Loop: Header=BB2_276 Depth=3
	s_or_b32 exec_lo, exec_lo, s13
	v_mov_b64_e32 v[86:87], v[102:103]
.LBB2_304:                              ;   in Loop: Header=BB2_276 Depth=3
	s_or_b32 exec_lo, exec_lo, s29
	s_and_saveexec_b32 s13, s2
	s_cbranch_execz .LBB2_323
; %bb.305:                              ;   in Loop: Header=BB2_276 Depth=3
	s_and_saveexec_b32 s29, s3
	s_delay_alu instid0(SALU_CYCLE_1)
	s_xor_b32 s29, exec_lo, s29
	s_cbranch_execz .LBB2_320
; %bb.306:                              ;   in Loop: Header=BB2_276 Depth=3
	s_and_saveexec_b32 s60, s6
	s_cbranch_execz .LBB2_319
; %bb.307:                              ;   in Loop: Header=BB2_276 Depth=3
	s_mov_b32 s62, exec_lo
	s_mov_b32 s61, exec_lo
	v_mbcnt_lo_u32_b32 v3, s62, 0
	global_wb scope:SCOPE_DEV
	s_wait_storecnt 0x0
	s_wait_loadcnt_dscnt 0x0
	global_inv scope:SCOPE_DEV
	v_cmpx_eq_u32_e32 0, v3
	s_cbranch_execz .LBB2_309
; %bb.308:                              ;   in Loop: Header=BB2_276 Depth=3
	s_bcnt1_i32_b32 s62, s62
	s_delay_alu instid0(SALU_CYCLE_1)
	v_dual_mov_b32 v103, v2 :: v_dual_mov_b32 v102, s62
	s_wait_loadcnt 0x0
	ds_add_u64 v0, v[102:103]
	s_trap 2
.LBB2_309:                              ;   in Loop: Header=BB2_276 Depth=3
	s_or_b32 exec_lo, exec_lo, s61
	s_trap 2
	ds_load_b64 v[102:103], v0
	s_wait_dscnt 0x0
	v_add_nc_u64_e32 v[12:13], v[12:13], v[32:33]
	s_mov_b32 s61, exec_lo
	s_delay_alu instid0(VALU_DEP_1)
	v_cmpx_lt_u64_e64 v[102:103], v[12:13]
	s_cbranch_execz .LBB2_318
; %bb.310:                              ;   in Loop: Header=BB2_276 Depth=3
	s_mov_b32 s62, 0
	s_mov_b32 s73, 0
                                        ; implicit-def: $sgpr63
                                        ; implicit-def: $sgpr72
	s_branch .LBB2_312
.LBB2_311:                              ;   in Loop: Header=BB2_312 Depth=4
	s_or_b32 exec_lo, exec_lo, s75
	s_delay_alu instid0(SALU_CYCLE_1) | instskip(NEXT) | instid1(SALU_CYCLE_1)
	s_and_b32 s74, exec_lo, s76
	s_or_b32 s62, s74, s62
	s_and_not1_b32 s63, s63, exec_lo
	s_and_b32 s74, s72, exec_lo
	s_delay_alu instid0(SALU_CYCLE_1)
	s_or_b32 s63, s63, s74
	s_and_not1_b32 exec_lo, exec_lo, s62
	s_cbranch_execz .LBB2_316
.LBB2_312:                              ;   Parent Loop BB2_47 Depth=1
                                        ;     Parent Loop BB2_273 Depth=2
                                        ;       Parent Loop BB2_276 Depth=3
                                        ; =>      This Inner Loop Header: Depth=4
	s_add_co_i32 s73, s73, 1
	s_delay_alu instid0(SALU_CYCLE_1) | instskip(SKIP_1) | instid1(SALU_CYCLE_1)
	s_cmp_lg_u32 s73, 0x2710
	s_cselect_b32 s74, -1, 0
	s_and_b32 vcc_lo, exec_lo, s74
	s_cbranch_vccz .LBB2_314
; %bb.313:                              ;   in Loop: Header=BB2_312 Depth=4
	s_mov_b32 s76, -1
	s_or_b32 s72, s72, exec_lo
	s_and_saveexec_b32 s75, s74
	s_cbranch_execz .LBB2_311
	s_branch .LBB2_315
.LBB2_314:                              ;   in Loop: Header=BB2_312 Depth=4
	s_trap 2
	ds_load_b64 v[102:103], v0
	s_and_not1_b32 s74, s74, exec_lo
	s_mov_b32 s73, 0
	s_wait_loadcnt_dscnt 0x0
	flat_load_b32 v3, v[102:103] scope:SCOPE_SYS
	s_wait_loadcnt_dscnt 0x0
	global_inv scope:SCOPE_SYS
	v_cmp_eq_u32_e32 vcc_lo, 0, v3
	s_and_b32 s75, vcc_lo, exec_lo
	s_delay_alu instid0(SALU_CYCLE_1)
	s_or_b32 s74, s74, s75
	s_mov_b32 s76, -1
	s_or_b32 s72, s72, exec_lo
	s_and_saveexec_b32 s75, s74
	s_cbranch_execz .LBB2_311
.LBB2_315:                              ;   in Loop: Header=BB2_312 Depth=4
	s_sleep 1
	s_trap 2
	ds_load_b64 v[102:103], v0
	s_wait_dscnt 0x0
	s_and_not1_b32 s72, s72, exec_lo
	v_cmp_ge_u64_e32 vcc_lo, v[102:103], v[12:13]
	s_or_not1_b32 s76, vcc_lo, exec_lo
	s_branch .LBB2_311
.LBB2_316:                              ;   in Loop: Header=BB2_276 Depth=3
	s_or_b32 exec_lo, exec_lo, s62
	s_and_saveexec_b32 s62, s63
	s_delay_alu instid0(SALU_CYCLE_1)
	s_xor_b32 s62, exec_lo, s62
	s_cbranch_execz .LBB2_318
; %bb.317:                              ;   in Loop: Header=BB2_276 Depth=3
	ds_store_b32 v0, v59
	s_trap 2
.LBB2_318:                              ;   in Loop: Header=BB2_276 Depth=3
	s_or_b32 exec_lo, exec_lo, s61
	;;#ASMSTART
	s_wakeup
	;;#ASMEND
.LBB2_319:                              ;   in Loop: Header=BB2_276 Depth=3
	s_or_b32 exec_lo, exec_lo, s60
.LBB2_320:                              ;   in Loop: Header=BB2_276 Depth=3
	s_and_not1_saveexec_b32 s29, s29
	s_cbranch_execz .LBB2_322
; %bb.321:                              ;   in Loop: Header=BB2_276 Depth=3
	global_wb scope:SCOPE_DEV
	s_wait_storecnt 0x0
	s_wait_loadcnt_dscnt 0x0
	global_inv scope:SCOPE_DEV
	s_barrier_signal -1
	s_barrier_wait -1
.LBB2_322:                              ;   in Loop: Header=BB2_276 Depth=3
	s_or_b32 exec_lo, exec_lo, s29
.LBB2_323:                              ;   in Loop: Header=BB2_276 Depth=3
	s_delay_alu instid0(SALU_CYCLE_1) | instskip(SKIP_4) | instid1(VALU_DEP_1)
	s_or_b32 exec_lo, exec_lo, s13
	s_trap 2
	ds_load_b32 v3, v0
	v_and_b32_e32 v9, 0x4000, v30
	s_xor_b32 s13, s1, -1
	v_cmp_ne_u32_e32 vcc_lo, 0, v9
	s_and_b32 s29, s13, vcc_lo
	s_delay_alu instid0(SALU_CYCLE_1)
	s_and_saveexec_b32 s13, s29
	s_cbranch_execz .LBB2_342
; %bb.324:                              ;   in Loop: Header=BB2_276 Depth=3
	s_and_saveexec_b32 s29, s3
	s_delay_alu instid0(SALU_CYCLE_1)
	s_xor_b32 s29, exec_lo, s29
	s_cbranch_execz .LBB2_339
; %bb.325:                              ;   in Loop: Header=BB2_276 Depth=3
	s_and_saveexec_b32 s60, s6
	s_cbranch_execz .LBB2_338
; %bb.326:                              ;   in Loop: Header=BB2_276 Depth=3
	s_mov_b32 s62, exec_lo
	s_mov_b32 s61, exec_lo
	v_mbcnt_lo_u32_b32 v9, s62, 0
	global_wb scope:SCOPE_DEV
	s_wait_storecnt 0x0
	s_wait_loadcnt_dscnt 0x0
	global_inv scope:SCOPE_DEV
	v_cmpx_eq_u32_e32 0, v9
	s_cbranch_execz .LBB2_328
; %bb.327:                              ;   in Loop: Header=BB2_276 Depth=3
	s_bcnt1_i32_b32 s62, s62
	s_delay_alu instid0(SALU_CYCLE_1)
	v_dual_mov_b32 v103, v2 :: v_dual_mov_b32 v102, s62
	s_wait_loadcnt 0x0
	ds_add_u64 v0, v[102:103]
	s_trap 2
.LBB2_328:                              ;   in Loop: Header=BB2_276 Depth=3
	s_or_b32 exec_lo, exec_lo, s61
	s_trap 2
	ds_load_b64 v[102:103], v0
	s_wait_dscnt 0x0
	v_add_nc_u64_e32 v[12:13], v[12:13], v[32:33]
	s_mov_b32 s61, exec_lo
	s_delay_alu instid0(VALU_DEP_1)
	v_cmpx_lt_u64_e64 v[102:103], v[12:13]
	s_cbranch_execz .LBB2_337
; %bb.329:                              ;   in Loop: Header=BB2_276 Depth=3
	s_mov_b32 s62, 0
	s_mov_b32 s73, 0
                                        ; implicit-def: $sgpr63
                                        ; implicit-def: $sgpr72
	s_branch .LBB2_331
.LBB2_330:                              ;   in Loop: Header=BB2_331 Depth=4
	s_or_b32 exec_lo, exec_lo, s75
	s_delay_alu instid0(SALU_CYCLE_1) | instskip(NEXT) | instid1(SALU_CYCLE_1)
	s_and_b32 s74, exec_lo, s76
	s_or_b32 s62, s74, s62
	s_and_not1_b32 s63, s63, exec_lo
	s_and_b32 s74, s72, exec_lo
	s_delay_alu instid0(SALU_CYCLE_1)
	s_or_b32 s63, s63, s74
	s_and_not1_b32 exec_lo, exec_lo, s62
	s_cbranch_execz .LBB2_335
.LBB2_331:                              ;   Parent Loop BB2_47 Depth=1
                                        ;     Parent Loop BB2_273 Depth=2
                                        ;       Parent Loop BB2_276 Depth=3
                                        ; =>      This Inner Loop Header: Depth=4
	s_add_co_i32 s73, s73, 1
	s_delay_alu instid0(SALU_CYCLE_1) | instskip(SKIP_1) | instid1(SALU_CYCLE_1)
	s_cmp_lg_u32 s73, 0x2710
	s_cselect_b32 s74, -1, 0
	s_and_b32 vcc_lo, exec_lo, s74
	s_cbranch_vccz .LBB2_333
; %bb.332:                              ;   in Loop: Header=BB2_331 Depth=4
	s_mov_b32 s76, -1
	s_or_b32 s72, s72, exec_lo
	s_and_saveexec_b32 s75, s74
	s_cbranch_execz .LBB2_330
	s_branch .LBB2_334
.LBB2_333:                              ;   in Loop: Header=BB2_331 Depth=4
	s_trap 2
	ds_load_b64 v[102:103], v0
	s_and_not1_b32 s74, s74, exec_lo
	s_mov_b32 s73, 0
	s_wait_loadcnt_dscnt 0x0
	flat_load_b32 v9, v[102:103] scope:SCOPE_SYS
	s_wait_loadcnt_dscnt 0x0
	global_inv scope:SCOPE_SYS
	v_cmp_eq_u32_e32 vcc_lo, 0, v9
	s_and_b32 s75, vcc_lo, exec_lo
	s_delay_alu instid0(SALU_CYCLE_1)
	s_or_b32 s74, s74, s75
	s_mov_b32 s76, -1
	s_or_b32 s72, s72, exec_lo
	s_and_saveexec_b32 s75, s74
	s_cbranch_execz .LBB2_330
.LBB2_334:                              ;   in Loop: Header=BB2_331 Depth=4
	s_sleep 1
	s_trap 2
	ds_load_b64 v[102:103], v0
	s_wait_dscnt 0x0
	s_and_not1_b32 s72, s72, exec_lo
	v_cmp_ge_u64_e32 vcc_lo, v[102:103], v[12:13]
	s_or_not1_b32 s76, vcc_lo, exec_lo
	s_branch .LBB2_330
.LBB2_335:                              ;   in Loop: Header=BB2_276 Depth=3
	s_or_b32 exec_lo, exec_lo, s62
	s_and_saveexec_b32 s62, s63
	s_delay_alu instid0(SALU_CYCLE_1)
	s_xor_b32 s62, exec_lo, s62
	s_cbranch_execz .LBB2_337
; %bb.336:                              ;   in Loop: Header=BB2_276 Depth=3
	ds_store_b32 v0, v59
	s_trap 2
.LBB2_337:                              ;   in Loop: Header=BB2_276 Depth=3
	s_or_b32 exec_lo, exec_lo, s61
	;;#ASMSTART
	s_wakeup
	;;#ASMEND
.LBB2_338:                              ;   in Loop: Header=BB2_276 Depth=3
	s_or_b32 exec_lo, exec_lo, s60
.LBB2_339:                              ;   in Loop: Header=BB2_276 Depth=3
	s_and_not1_saveexec_b32 s29, s29
	s_cbranch_execz .LBB2_341
; %bb.340:                              ;   in Loop: Header=BB2_276 Depth=3
	global_wb scope:SCOPE_DEV
	s_wait_storecnt 0x0
	s_wait_loadcnt_dscnt 0x0
	global_inv scope:SCOPE_DEV
	s_barrier_signal -1
	s_barrier_wait -1
.LBB2_341:                              ;   in Loop: Header=BB2_276 Depth=3
	s_or_b32 exec_lo, exec_lo, s29
.LBB2_342:                              ;   in Loop: Header=BB2_276 Depth=3
	s_delay_alu instid0(SALU_CYCLE_1)
	s_or_b32 exec_lo, exec_lo, s13
	s_trap 2
	ds_load_b64 v[102:103], v0
	s_wait_dscnt 0x0
	v_cmp_eq_u64_e32 vcc_lo, 0, v[102:103]
	s_cbranch_vccnz .LBB2_350
; %bb.343:                              ;   in Loop: Header=BB2_276 Depth=3
	s_trap 2
	ds_load_b64 v[112:113], v0
	s_wait_dscnt 0x0
	v_cmp_eq_u64_e32 vcc_lo, 0, v[112:113]
	s_cbranch_vccnz .LBB2_350
; %bb.344:                              ;   in Loop: Header=BB2_276 Depth=3
	s_mov_b32 s13, -1
	s_and_saveexec_b32 s29, s11
	s_cbranch_execz .LBB2_346
; %bb.345:                              ;   in Loop: Header=BB2_276 Depth=3
	ds_load_b32 v9, v0 offset:720
	s_wait_dscnt 0x0
	v_and_b32_e32 v9, 15, v9
	s_delay_alu instid0(VALU_DEP_1)
	v_cmp_eq_u32_e32 vcc_lo, 0, v9
	s_or_not1_b32 s13, vcc_lo, exec_lo
.LBB2_346:                              ;   in Loop: Header=BB2_276 Depth=3
	s_or_b32 exec_lo, exec_lo, s29
	s_and_saveexec_b32 s29, s10
	s_cbranch_execz .LBB2_348
; %bb.347:                              ;   in Loop: Header=BB2_276 Depth=3
	ds_load_b32 v9, v0 offset:784
	s_wait_dscnt 0x0
	v_and_b32_e32 v9, 15, v9
	s_delay_alu instid0(VALU_DEP_1) | instskip(SKIP_3) | instid1(SALU_CYCLE_1)
	v_cmp_eq_u32_e32 vcc_lo, 0, v9
	s_and_b32 s60, s13, vcc_lo
	s_and_not1_b32 s13, s13, exec_lo
	s_and_b32 s60, s60, exec_lo
	s_or_b32 s13, s13, s60
.LBB2_348:                              ;   in Loop: Header=BB2_276 Depth=3
	s_or_b32 exec_lo, exec_lo, s29
	v_cmp_eq_u32_e32 vcc_lo, 0, v3
	s_xor_b32 s13, s13, -1
	s_mov_b32 s60, -1
	v_cndmask_b32_e64 v11, 0, 1, s13
	v_dual_mov_b32 v3, 0 :: v_dual_cndmask_b32 v9, 0, v8, vcc_lo
	s_delay_alu instid0(VALU_DEP_2) | instskip(NEXT) | instid1(VALU_DEP_2)
	v_cmp_ne_u32_e32 vcc_lo, 0, v11
	v_lshlrev_b32_e32 v11, 2, v9
	s_cbranch_vccz .LBB2_351
; %bb.349:                              ;   in Loop: Header=BB2_276 Depth=3
	v_mov_b32_e32 v43, v0
	s_and_saveexec_b32 s13, s60
	s_cbranch_execnz .LBB2_362
	s_branch .LBB2_370
.LBB2_350:                              ;   in Loop: Header=BB2_276 Depth=3
	s_mov_b32 s13, 0
	s_and_saveexec_b32 s29, s2
	s_cbranch_execnz .LBB2_371
	s_branch .LBB2_389
.LBB2_351:                              ;   in Loop: Header=BB2_276 Depth=3
	s_delay_alu instid0(VALU_DEP_1) | instskip(SKIP_1) | instid1(VALU_DEP_1)
	v_ashrrev_i32_e32 v3, 31, v11
	s_mov_b32 s29, exec_lo
	v_dual_sub_nc_u32 v42, v11, v36 :: v_dual_lshrrev_b32 v3, 23, v3
	s_delay_alu instid0(VALU_DEP_1) | instskip(NEXT) | instid1(VALU_DEP_1)
	v_add_nc_u32_e32 v3, v11, v3
	v_and_b32_e32 v41, 0xfffffe00, v3
	s_delay_alu instid0(VALU_DEP_1) | instskip(NEXT) | instid1(VALU_DEP_1)
	v_dual_ashrrev_i32 v3, 9, v3 :: v_dual_sub_nc_u32 v44, v11, v41
	v_sub_nc_u32_e32 v3, v3, v58
	s_delay_alu instid0(VALU_DEP_2) | instskip(NEXT) | instid1(VALU_DEP_2)
	v_cmp_lt_i32_e32 vcc_lo, 15, v44
	v_add_co_ci_u32_e64 v45, null, 0, v3, vcc_lo
	v_cmpx_lt_i32_e32 15, v42
	s_cbranch_execz .LBB2_355
; %bb.352:                              ;   in Loop: Header=BB2_276 Depth=3
	s_trap 2
	ds_load_b64 v[116:117], v0
	v_add_nc_u64_e32 v[114:115], v[102:103], v[36:37]
	v_add_nc_u64_e32 v[118:119], v[112:113], v[36:37]
	s_mov_b32 s60, 0
	s_wait_dscnt 0x0
	v_add_nc_u64_e32 v[116:117], v[116:117], v[36:37]
.LBB2_353:                              ;   Parent Loop BB2_47 Depth=1
                                        ;     Parent Loop BB2_273 Depth=2
                                        ;       Parent Loop BB2_276 Depth=3
                                        ; =>      This Inner Loop Header: Depth=4
	global_load_b128 v[72:75], v[116:117], off th:TH_LOAD_NT
	global_load_b128 v[76:79], v[114:115], off th:TH_LOAD_NT
	v_mov_b32_e32 v46, v2
	s_wait_xcnt 0x0
	v_add_nc_u64_e32 v[114:115], v[114:115], v[50:51]
	v_add_nc_u64_e32 v[116:117], v[116:117], v[50:51]
	v_dual_sub_nc_u32 v45, v45, v32 :: v_dual_sub_nc_u32 v42, v42, v50
	s_delay_alu instid0(VALU_DEP_1)
	v_cmp_gt_i32_e64 s13, 16, v42
	s_or_b32 s60, s13, s60
	s_wait_loadcnt 0x1
	v_dual_mov_b32 v3, v73 :: v_dual_mov_b32 v47, v75
	s_wait_loadcnt 0x0
	v_dual_add_nc_u32 v72, v72, v76 :: v_dual_add_nc_u32 v74, v74, v78
	s_delay_alu instid0(VALU_DEP_2) | instskip(NEXT) | instid1(VALU_DEP_3)
	v_add_nc_u64_e32 v[62:63], v[2:3], v[76:77]
	v_add_nc_u64_e32 v[46:47], v[46:47], v[78:79]
	s_delay_alu instid0(VALU_DEP_1)
	v_dual_mov_b32 v73, v63 :: v_dual_mov_b32 v75, v47
	global_store_b128 v[118:119], v[72:75], off th:TH_STORE_NT
	s_wait_xcnt 0x0
	v_add_nc_u64_e32 v[118:119], v[118:119], v[50:51]
	s_and_not1_b32 exec_lo, exec_lo, s60
	s_cbranch_execnz .LBB2_353
; %bb.354:                              ;   in Loop: Header=BB2_276 Depth=3
	s_or_b32 exec_lo, exec_lo, s60
.LBB2_355:                              ;   in Loop: Header=BB2_276 Depth=3
	s_delay_alu instid0(SALU_CYCLE_1) | instskip(SKIP_3) | instid1(VALU_DEP_1)
	s_or_b32 exec_lo, exec_lo, s29
	v_dual_mov_b32 v3, 0 :: v_dual_bitop2_b32 v114, 12, v11 bitop3:0x40
	s_mov_b32 s60, 0
	s_mov_b32 s29, exec_lo
                                        ; implicit-def: $vgpr11
                                        ; implicit-def: $vgpr43
	v_cndmask_b32_e32 v42, v44, v114, vcc_lo
	s_delay_alu instid0(VALU_DEP_1)
	v_cmpx_ne_u32_e32 0, v42
	s_cbranch_execz .LBB2_361
; %bb.356:                              ;   in Loop: Header=BB2_276 Depth=3
	v_cmp_lt_i32_e64 s13, 0, v45
	s_mov_b32 s60, exec_lo
	v_ashrrev_i32_e32 v115, 31, v42
	v_dual_sub_nc_u32 v114, v44, v114 :: v_dual_cndmask_b32 v3, 0, v32, s13
	s_delay_alu instid0(VALU_DEP_1) | instskip(NEXT) | instid1(VALU_DEP_1)
	v_dual_cndmask_b32 v114, 0, v114 :: v_dual_lshrrev_b32 v115, 23, v115
	v_dual_sub_nc_u32 v3, v3, v45 :: v_dual_add_nc_u32 v115, v42, v115
	s_delay_alu instid0(VALU_DEP_2) | instskip(NEXT) | instid1(VALU_DEP_2)
	v_add_nc_u32_e32 v41, v114, v41
	v_lshl_or_b32 v3, v3, 5, v57
	s_delay_alu instid0(VALU_DEP_3) | instskip(SKIP_1) | instid1(VALU_DEP_3)
	v_and_b32_e32 v45, 0xfffffe00, v115
	v_ashrrev_i32_e32 v115, 9, v115
	v_ashrrev_i32_e32 v11, 31, v3
	s_delay_alu instid0(VALU_DEP_1) | instskip(NEXT) | instid1(VALU_DEP_1)
	v_lshrrev_b32_e32 v11, 27, v11
	v_add_nc_u32_e32 v11, v3, v11
	s_delay_alu instid0(VALU_DEP_1) | instskip(NEXT) | instid1(VALU_DEP_1)
	v_and_b32_e32 v116, 0xffffffe0, v11
	v_dual_sub_nc_u32 v43, v3, v116 :: v_dual_ashrrev_i32 v116, 5, v11
	v_sub_nc_u32_e32 v11, v42, v45
	s_delay_alu instid0(VALU_DEP_1) | instskip(SKIP_1) | instid1(VALU_DEP_1)
	v_cmp_lt_i32_e32 vcc_lo, 15, v11
	v_add_co_ci_u32_e64 v115, null, 0, v115, vcc_lo
	v_dual_lshlrev_b32 v3, 4, v43 :: v_dual_sub_nc_u32 v44, v115, v116
	s_delay_alu instid0(VALU_DEP_1) | instskip(NEXT) | instid1(VALU_DEP_1)
	v_lshl_add_u32 v3, v116, 9, v3
	v_sub_nc_u32_e32 v46, v42, v3
	s_delay_alu instid0(VALU_DEP_1)
	v_cmpx_lt_i32_e32 15, v46
	s_cbranch_execz .LBB2_360
; %bb.357:                              ;   in Loop: Header=BB2_276 Depth=3
	s_trap 2
	ds_load_b64 v[116:117], v0
	v_add_nc_u32_e32 v118, v3, v41
	s_mov_b32 s61, 0
	s_delay_alu instid0(VALU_DEP_1) | instskip(NEXT) | instid1(VALU_DEP_1)
	v_ashrrev_i32_e32 v119, 31, v118
	v_add_nc_u64_e32 v[114:115], v[118:119], v[102:103]
	s_wait_dscnt 0x0
	v_add_nc_u64_e32 v[116:117], v[116:117], v[118:119]
	v_add_nc_u64_e32 v[118:119], v[118:119], v[112:113]
.LBB2_358:                              ;   Parent Loop BB2_47 Depth=1
                                        ;     Parent Loop BB2_273 Depth=2
                                        ;       Parent Loop BB2_276 Depth=3
                                        ; =>      This Inner Loop Header: Depth=4
	global_load_b128 v[72:75], v[116:117], off th:TH_LOAD_NT
	global_load_b128 v[76:79], v[114:115], off th:TH_LOAD_NT
	v_mov_b32_e32 v62, v2
	s_wait_xcnt 0x0
	v_add_nc_u64_e32 v[114:115], v[114:115], v[50:51]
	v_add_nc_u64_e32 v[116:117], v[116:117], v[50:51]
	v_dual_sub_nc_u32 v44, v44, v32 :: v_dual_sub_nc_u32 v46, v46, v50
	s_delay_alu instid0(VALU_DEP_1)
	v_cmp_gt_i32_e64 s13, 16, v46
	s_or_b32 s61, s13, s61
	s_wait_loadcnt 0x1
	v_dual_mov_b32 v3, v73 :: v_dual_mov_b32 v63, v75
	s_wait_loadcnt 0x0
	v_dual_add_nc_u32 v72, v72, v76 :: v_dual_add_nc_u32 v74, v74, v78
	s_delay_alu instid0(VALU_DEP_2) | instskip(NEXT) | instid1(VALU_DEP_3)
	v_add_nc_u64_e32 v[88:89], v[2:3], v[76:77]
	v_add_nc_u64_e32 v[62:63], v[62:63], v[78:79]
	s_delay_alu instid0(VALU_DEP_1)
	v_dual_mov_b32 v73, v89 :: v_dual_mov_b32 v75, v63
	global_store_b128 v[118:119], v[72:75], off th:TH_STORE_NT
	s_wait_xcnt 0x0
	v_add_nc_u64_e32 v[118:119], v[118:119], v[50:51]
	s_and_not1_b32 exec_lo, exec_lo, s61
	s_cbranch_execnz .LBB2_358
; %bb.359:                              ;   in Loop: Header=BB2_276 Depth=3
	s_or_b32 exec_lo, exec_lo, s61
.LBB2_360:                              ;   in Loop: Header=BB2_276 Depth=3
	s_delay_alu instid0(SALU_CYCLE_1) | instskip(SKIP_1) | instid1(VALU_DEP_1)
	s_or_b32 exec_lo, exec_lo, s60
	v_cmp_lt_i32_e64 s13, 0, v44
	v_dual_cndmask_b32 v115, 0, v32, s13 :: v_dual_bitop2_b32 v3, 12, v42 bitop3:0x40
	s_delay_alu instid0(VALU_DEP_1) | instskip(NEXT) | instid1(VALU_DEP_1)
	v_dual_cndmask_b32 v11, v11, v3 :: v_dual_sub_nc_u32 v114, v11, v3
	v_dual_cndmask_b32 v3, 0, v114 :: v_dual_sub_nc_u32 v114, v115, v44
	s_delay_alu instid0(VALU_DEP_2) | instskip(NEXT) | instid1(VALU_DEP_2)
	v_cmp_ne_u32_e32 vcc_lo, 0, v11
	v_add3_u32 v3, v45, v41, v3
	s_delay_alu instid0(VALU_DEP_3)
	v_lshl_add_u32 v43, v114, 5, v43
	s_and_b32 s60, vcc_lo, exec_lo
.LBB2_361:                              ;   in Loop: Header=BB2_276 Depth=3
	s_or_b32 exec_lo, exec_lo, s29
	s_and_saveexec_b32 s13, s60
	s_cbranch_execz .LBB2_370
.LBB2_362:                              ;   in Loop: Header=BB2_276 Depth=3
	v_ashrrev_i32_e32 v115, 31, v11
	s_mov_b32 s29, exec_lo
	s_delay_alu instid0(VALU_DEP_1) | instskip(NEXT) | instid1(VALU_DEP_1)
	v_lshrrev_b32_e32 v115, 24, v115
	v_add_nc_u32_e32 v115, v11, v115
	s_delay_alu instid0(VALU_DEP_1) | instskip(SKIP_1) | instid1(VALU_DEP_1)
	v_ashrrev_i32_e32 v44, 8, v115
	v_ashrrev_i32_e32 v114, 31, v43
	v_lshrrev_b32_e32 v114, 27, v114
	s_delay_alu instid0(VALU_DEP_1) | instskip(NEXT) | instid1(VALU_DEP_1)
	v_add_nc_u32_e32 v114, v43, v114
	v_ashrrev_i32_e32 v41, 5, v114
	s_delay_alu instid0(VALU_DEP_1) | instskip(NEXT) | instid1(VALU_DEP_1)
	v_sub_nc_u32_e32 v42, v44, v41
	v_cmpx_lt_i32_e32 0, v42
	s_cbranch_execz .LBB2_366
; %bb.363:                              ;   in Loop: Header=BB2_276 Depth=3
	v_and_b32_e32 v114, 0x3fffffe0, v114
	s_trap 2
	ds_load_b64 v[116:117], v0
	s_mov_b32 s60, 0
	v_dual_lshlrev_b32 v115, 8, v41 :: v_dual_sub_nc_u32 v114, v43, v114
	s_delay_alu instid0(VALU_DEP_1) | instskip(NEXT) | instid1(VALU_DEP_1)
	v_lshlrev_b32_e32 v114, 2, v114
	v_add3_u32 v118, v114, v3, v115
	s_delay_alu instid0(VALU_DEP_1) | instskip(NEXT) | instid1(VALU_DEP_1)
	v_ashrrev_i32_e32 v119, 31, v118
	v_add_nc_u64_e32 v[114:115], v[118:119], v[102:103]
	s_wait_dscnt 0x0
	v_add_nc_u64_e32 v[116:117], v[116:117], v[118:119]
	v_add_nc_u64_e32 v[118:119], v[118:119], v[112:113]
.LBB2_364:                              ;   Parent Loop BB2_47 Depth=1
                                        ;     Parent Loop BB2_273 Depth=2
                                        ;       Parent Loop BB2_276 Depth=3
                                        ; =>      This Inner Loop Header: Depth=4
	s_clause 0x1
	flat_load_b32 v45, v[114:115] th:TH_LOAD_NT
	flat_load_b32 v46, v[114:115] offset:128 th:TH_LOAD_NT
	s_clause 0x1
	flat_load_b32 v47, v[116:117] th:TH_LOAD_NT
	flat_load_b32 v62, v[116:117] offset:128 th:TH_LOAD_NT
	v_sub_nc_u32_e32 v42, v42, v32
	s_wait_xcnt 0x2
	v_add_nc_u64_e32 v[114:115], v[114:115], v[52:53]
	s_wait_xcnt 0x0
	v_add_nc_u64_e32 v[116:117], v[116:117], v[52:53]
	s_wait_loadcnt_dscnt 0x0
	v_dual_add_nc_u32 v45, v47, v45 :: v_dual_add_nc_u32 v46, v62, v46
	v_cmp_gt_i32_e32 vcc_lo, 1, v42
	s_clause 0x1
	flat_store_b32 v[118:119], v45 th:TH_STORE_NT
	flat_store_b32 v[118:119], v46 offset:128 th:TH_STORE_NT
	s_wait_xcnt 0x0
	v_add_nc_u64_e32 v[118:119], v[118:119], v[52:53]
	s_or_b32 s60, vcc_lo, s60
	s_delay_alu instid0(SALU_CYCLE_1)
	s_and_not1_b32 exec_lo, exec_lo, s60
	s_cbranch_execnz .LBB2_364
; %bb.365:                              ;   in Loop: Header=BB2_276 Depth=3
	s_or_b32 exec_lo, exec_lo, s60
.LBB2_366:                              ;   in Loop: Header=BB2_276 Depth=3
	s_delay_alu instid0(SALU_CYCLE_1) | instskip(SKIP_1) | instid1(VALU_DEP_1)
	s_or_b32 exec_lo, exec_lo, s29
	v_lshlrev_b32_e32 v114, 8, v44
	v_cmp_ne_u32_e32 vcc_lo, v11, v114
	s_and_b32 exec_lo, exec_lo, vcc_lo
	s_cbranch_execz .LBB2_370
; %bb.367:                              ;   in Loop: Header=BB2_276 Depth=3
	v_dual_lshlrev_b32 v115, 5, v41 :: v_dual_lshlrev_b32 v116, 5, v42
	s_delay_alu instid0(VALU_DEP_1) | instskip(NEXT) | instid1(VALU_DEP_1)
	v_sub_nc_u32_e32 v115, v43, v115
	v_sub_nc_u32_e32 v115, v115, v116
	s_delay_alu instid0(VALU_DEP_1) | instskip(NEXT) | instid1(VALU_DEP_1)
	v_ashrrev_i32_e32 v116, 31, v115
	v_lshrrev_b32_e32 v116, 27, v116
	s_delay_alu instid0(VALU_DEP_1) | instskip(NEXT) | instid1(VALU_DEP_1)
	v_add_nc_u32_e32 v116, v115, v116
	v_and_b32_e32 v117, 0x3fffffe0, v116
	s_delay_alu instid0(VALU_DEP_1) | instskip(NEXT) | instid1(VALU_DEP_1)
	v_dual_lshlrev_b32 v116, 2, v116 :: v_dual_sub_nc_u32 v115, v115, v117
	v_and_b32_e32 v116, 0xffffff80, v116
	s_delay_alu instid0(VALU_DEP_2) | instskip(NEXT) | instid1(VALU_DEP_1)
	v_lshlrev_b32_e32 v115, 2, v115
	v_add3_u32 v114, v116, v115, v114
	s_delay_alu instid0(VALU_DEP_1) | instskip(NEXT) | instid1(VALU_DEP_1)
	v_sub_nc_u32_e32 v11, v11, v114
	v_cmp_lt_i32_e32 vcc_lo, 3, v11
	s_and_b32 exec_lo, exec_lo, vcc_lo
	s_cbranch_execz .LBB2_370
; %bb.368:                              ;   in Loop: Header=BB2_276 Depth=3
	s_trap 2
	ds_load_b64 v[116:117], v0
	v_add_nc_u32_e32 v118, v114, v3
	s_mov_b32 s29, 0
	s_delay_alu instid0(VALU_DEP_1) | instskip(NEXT) | instid1(VALU_DEP_1)
	v_ashrrev_i32_e32 v119, 31, v118
	v_add_nc_u64_e32 v[102:103], v[118:119], v[102:103]
	v_add_nc_u64_e32 v[112:113], v[118:119], v[112:113]
	s_wait_dscnt 0x0
	v_add_nc_u64_e32 v[114:115], v[116:117], v[118:119]
.LBB2_369:                              ;   Parent Loop BB2_47 Depth=1
                                        ;     Parent Loop BB2_273 Depth=2
                                        ;       Parent Loop BB2_276 Depth=3
                                        ; =>      This Inner Loop Header: Depth=4
	flat_load_b32 v3, v[102:103] th:TH_LOAD_NT
	flat_load_b32 v116, v[114:115] th:TH_LOAD_NT
	v_sub_nc_u32_e32 v11, v11, v54
	s_wait_xcnt 0x1
	v_add_nc_u64_e32 v[102:103], v[102:103], v[54:55]
	s_wait_xcnt 0x0
	v_add_nc_u64_e32 v[114:115], v[114:115], v[54:55]
	s_wait_loadcnt_dscnt 0x0
	v_add_nc_u32_e32 v3, v116, v3
	v_cmp_gt_i32_e32 vcc_lo, 4, v11
	flat_store_b32 v[112:113], v3 th:TH_STORE_NT
	s_wait_xcnt 0x0
	v_add_nc_u64_e32 v[112:113], v[112:113], v[54:55]
	s_or_b32 s29, vcc_lo, s29
	s_delay_alu instid0(SALU_CYCLE_1)
	s_and_not1_b32 exec_lo, exec_lo, s29
	s_cbranch_execnz .LBB2_369
.LBB2_370:                              ;   in Loop: Header=BB2_276 Depth=3
	s_or_b32 exec_lo, exec_lo, s13
	v_cmp_lt_i32_e64 s13, 0, v9
	s_and_saveexec_b32 s29, s2
	s_cbranch_execz .LBB2_389
.LBB2_371:                              ;   in Loop: Header=BB2_276 Depth=3
	s_and_saveexec_b32 s60, s3
	s_delay_alu instid0(SALU_CYCLE_1)
	s_xor_b32 s60, exec_lo, s60
	s_cbranch_execz .LBB2_386
; %bb.372:                              ;   in Loop: Header=BB2_276 Depth=3
	s_and_saveexec_b32 s61, s6
	s_cbranch_execz .LBB2_385
; %bb.373:                              ;   in Loop: Header=BB2_276 Depth=3
	s_mov_b32 s63, exec_lo
	s_mov_b32 s62, exec_lo
	v_mbcnt_lo_u32_b32 v3, s63, 0
	global_wb scope:SCOPE_DEV
	s_wait_storecnt 0x0
	s_wait_loadcnt_dscnt 0x0
	global_inv scope:SCOPE_DEV
	v_cmpx_eq_u32_e32 0, v3
	s_cbranch_execz .LBB2_375
; %bb.374:                              ;   in Loop: Header=BB2_276 Depth=3
	s_bcnt1_i32_b32 s63, s63
	s_delay_alu instid0(SALU_CYCLE_1)
	v_dual_mov_b32 v103, v2 :: v_dual_mov_b32 v102, s63
	s_wait_loadcnt 0x0
	ds_add_u64 v0, v[102:103]
	s_trap 2
.LBB2_375:                              ;   in Loop: Header=BB2_276 Depth=3
	s_or_b32 exec_lo, exec_lo, s62
	s_trap 2
	ds_load_b64 v[102:103], v0
	s_wait_dscnt 0x0
	v_add_nc_u64_e32 v[12:13], v[12:13], v[32:33]
	s_mov_b32 s62, exec_lo
	s_delay_alu instid0(VALU_DEP_1)
	v_cmpx_lt_u64_e64 v[102:103], v[12:13]
	s_cbranch_execz .LBB2_384
; %bb.376:                              ;   in Loop: Header=BB2_276 Depth=3
	s_mov_b32 s63, 0
	s_mov_b32 s74, 0
                                        ; implicit-def: $sgpr72
                                        ; implicit-def: $sgpr73
	s_branch .LBB2_378
.LBB2_377:                              ;   in Loop: Header=BB2_378 Depth=4
	s_or_b32 exec_lo, exec_lo, s76
	s_delay_alu instid0(SALU_CYCLE_1) | instskip(NEXT) | instid1(SALU_CYCLE_1)
	s_and_b32 s75, exec_lo, s77
	s_or_b32 s63, s75, s63
	s_and_not1_b32 s72, s72, exec_lo
	s_and_b32 s75, s73, exec_lo
	s_delay_alu instid0(SALU_CYCLE_1)
	s_or_b32 s72, s72, s75
	s_and_not1_b32 exec_lo, exec_lo, s63
	s_cbranch_execz .LBB2_382
.LBB2_378:                              ;   Parent Loop BB2_47 Depth=1
                                        ;     Parent Loop BB2_273 Depth=2
                                        ;       Parent Loop BB2_276 Depth=3
                                        ; =>      This Inner Loop Header: Depth=4
	s_add_co_i32 s74, s74, 1
	s_delay_alu instid0(SALU_CYCLE_1) | instskip(SKIP_1) | instid1(SALU_CYCLE_1)
	s_cmp_lg_u32 s74, 0x2710
	s_cselect_b32 s75, -1, 0
	s_and_b32 vcc_lo, exec_lo, s75
	s_cbranch_vccz .LBB2_380
; %bb.379:                              ;   in Loop: Header=BB2_378 Depth=4
	s_mov_b32 s77, -1
	s_or_b32 s73, s73, exec_lo
	s_and_saveexec_b32 s76, s75
	s_cbranch_execz .LBB2_377
	s_branch .LBB2_381
.LBB2_380:                              ;   in Loop: Header=BB2_378 Depth=4
	s_trap 2
	ds_load_b64 v[102:103], v0
	s_and_not1_b32 s75, s75, exec_lo
	s_mov_b32 s74, 0
	s_wait_loadcnt_dscnt 0x0
	flat_load_b32 v3, v[102:103] scope:SCOPE_SYS
	s_wait_loadcnt_dscnt 0x0
	global_inv scope:SCOPE_SYS
	v_cmp_eq_u32_e32 vcc_lo, 0, v3
	s_and_b32 s76, vcc_lo, exec_lo
	s_delay_alu instid0(SALU_CYCLE_1)
	s_or_b32 s75, s75, s76
	s_mov_b32 s77, -1
	s_or_b32 s73, s73, exec_lo
	s_and_saveexec_b32 s76, s75
	s_cbranch_execz .LBB2_377
.LBB2_381:                              ;   in Loop: Header=BB2_378 Depth=4
	s_sleep 1
	s_trap 2
	ds_load_b64 v[102:103], v0
	s_wait_dscnt 0x0
	s_and_not1_b32 s73, s73, exec_lo
	v_cmp_ge_u64_e32 vcc_lo, v[102:103], v[12:13]
	s_or_not1_b32 s77, vcc_lo, exec_lo
	s_branch .LBB2_377
.LBB2_382:                              ;   in Loop: Header=BB2_276 Depth=3
	s_or_b32 exec_lo, exec_lo, s63
	s_and_saveexec_b32 s63, s72
	s_delay_alu instid0(SALU_CYCLE_1)
	s_xor_b32 s63, exec_lo, s63
	s_cbranch_execz .LBB2_384
; %bb.383:                              ;   in Loop: Header=BB2_276 Depth=3
	ds_store_b32 v0, v59
	s_trap 2
.LBB2_384:                              ;   in Loop: Header=BB2_276 Depth=3
	s_or_b32 exec_lo, exec_lo, s62
	;;#ASMSTART
	s_wakeup
	;;#ASMEND
.LBB2_385:                              ;   in Loop: Header=BB2_276 Depth=3
	s_or_b32 exec_lo, exec_lo, s61
.LBB2_386:                              ;   in Loop: Header=BB2_276 Depth=3
	s_and_not1_saveexec_b32 s60, s60
	s_cbranch_execz .LBB2_388
; %bb.387:                              ;   in Loop: Header=BB2_276 Depth=3
	global_wb scope:SCOPE_DEV
	s_wait_storecnt 0x0
	s_wait_loadcnt_dscnt 0x0
	global_inv scope:SCOPE_DEV
	s_barrier_signal -1
	s_barrier_wait -1
.LBB2_388:                              ;   in Loop: Header=BB2_276 Depth=3
	s_or_b32 exec_lo, exec_lo, s60
.LBB2_389:                              ;   in Loop: Header=BB2_276 Depth=3
	s_delay_alu instid0(SALU_CYCLE_1) | instskip(SKIP_2) | instid1(SALU_CYCLE_1)
	s_or_b32 exec_lo, exec_lo, s29
	v_and_b32_e32 v3, 16, v30
	s_and_saveexec_b32 s29, s12
	s_xor_b32 s29, exec_lo, s29
	s_cbranch_execz .LBB2_393
; %bb.390:                              ;   in Loop: Header=BB2_276 Depth=3
	v_and_b32_e32 v3, 16, v30
	s_delay_alu instid0(VALU_DEP_1) | instskip(SKIP_2) | instid1(SALU_CYCLE_1)
	v_cmp_ne_u32_e32 vcc_lo, 0, v3
	v_and_b32_e32 v3, 16, v30
	s_and_b32 s60, vcc_lo, s13
	s_and_saveexec_b32 s13, s60
	s_cbranch_execz .LBB2_392
; %bb.391:                              ;   in Loop: Header=BB2_276 Depth=3
	v_mov_b32_e32 v3, 1
	global_wb scope:SCOPE_SYS
	s_wait_storecnt 0x0
	s_wait_loadcnt_dscnt 0x0
	global_inv scope:SCOPE_SYS
.LBB2_392:                              ;   in Loop: Header=BB2_276 Depth=3
	s_or_b32 exec_lo, exec_lo, s13
.LBB2_393:                              ;   in Loop: Header=BB2_276 Depth=3
	s_and_not1_saveexec_b32 s13, s29
	s_cbranch_execz .LBB2_412
; %bb.394:                              ;   in Loop: Header=BB2_276 Depth=3
	s_and_saveexec_b32 s29, s3
	s_delay_alu instid0(SALU_CYCLE_1)
	s_xor_b32 s29, exec_lo, s29
	s_cbranch_execz .LBB2_409
; %bb.395:                              ;   in Loop: Header=BB2_276 Depth=3
	s_and_saveexec_b32 s60, s6
	s_cbranch_execz .LBB2_408
; %bb.396:                              ;   in Loop: Header=BB2_276 Depth=3
	s_mov_b32 s62, exec_lo
	s_mov_b32 s61, exec_lo
	v_mbcnt_lo_u32_b32 v9, s62, 0
	;;#ASMSTART
	s_waitcnt lgkmcnt(0) vmcnt(0)
	;;#ASMEND
	s_delay_alu instid0(VALU_DEP_1)
	v_cmpx_eq_u32_e32 0, v9
	s_cbranch_execz .LBB2_398
; %bb.397:                              ;   in Loop: Header=BB2_276 Depth=3
	s_bcnt1_i32_b32 s62, s62
	s_delay_alu instid0(SALU_CYCLE_1)
	v_dual_mov_b32 v103, v2 :: v_dual_mov_b32 v102, s62
	s_wait_storecnt 0x0
	s_wait_loadcnt_dscnt 0x0
	ds_add_u64 v0, v[102:103]
	s_trap 2
.LBB2_398:                              ;   in Loop: Header=BB2_276 Depth=3
	s_or_b32 exec_lo, exec_lo, s61
	s_trap 2
	ds_load_b64 v[102:103], v0
	s_wait_dscnt 0x0
	v_add_nc_u64_e32 v[12:13], v[12:13], v[32:33]
	s_mov_b32 s61, exec_lo
	s_delay_alu instid0(VALU_DEP_1)
	v_cmpx_lt_u64_e64 v[102:103], v[12:13]
	s_cbranch_execz .LBB2_407
; %bb.399:                              ;   in Loop: Header=BB2_276 Depth=3
	s_mov_b32 s62, 0
	s_mov_b32 s73, 0
                                        ; implicit-def: $sgpr63
                                        ; implicit-def: $sgpr72
	s_branch .LBB2_401
.LBB2_400:                              ;   in Loop: Header=BB2_401 Depth=4
	s_or_b32 exec_lo, exec_lo, s75
	s_delay_alu instid0(SALU_CYCLE_1) | instskip(NEXT) | instid1(SALU_CYCLE_1)
	s_and_b32 s74, exec_lo, s76
	s_or_b32 s62, s74, s62
	s_and_not1_b32 s63, s63, exec_lo
	s_and_b32 s74, s72, exec_lo
	s_delay_alu instid0(SALU_CYCLE_1)
	s_or_b32 s63, s63, s74
	s_and_not1_b32 exec_lo, exec_lo, s62
	s_cbranch_execz .LBB2_405
.LBB2_401:                              ;   Parent Loop BB2_47 Depth=1
                                        ;     Parent Loop BB2_273 Depth=2
                                        ;       Parent Loop BB2_276 Depth=3
                                        ; =>      This Inner Loop Header: Depth=4
	s_add_co_i32 s73, s73, 1
	s_delay_alu instid0(SALU_CYCLE_1) | instskip(SKIP_1) | instid1(SALU_CYCLE_1)
	s_cmp_lg_u32 s73, 0x2710
	s_cselect_b32 s74, -1, 0
	s_and_b32 vcc_lo, exec_lo, s74
	s_cbranch_vccz .LBB2_403
; %bb.402:                              ;   in Loop: Header=BB2_401 Depth=4
	s_mov_b32 s76, -1
	s_or_b32 s72, s72, exec_lo
	s_and_saveexec_b32 s75, s74
	s_cbranch_execz .LBB2_400
	s_branch .LBB2_404
.LBB2_403:                              ;   in Loop: Header=BB2_401 Depth=4
	s_trap 2
	ds_load_b64 v[102:103], v0
	s_and_not1_b32 s74, s74, exec_lo
	s_mov_b32 s73, 0
	s_wait_storecnt 0x0
	s_wait_loadcnt_dscnt 0x0
	flat_load_b32 v9, v[102:103] scope:SCOPE_SYS
	s_wait_loadcnt_dscnt 0x0
	global_inv scope:SCOPE_SYS
	v_cmp_eq_u32_e32 vcc_lo, 0, v9
	s_and_b32 s75, vcc_lo, exec_lo
	s_delay_alu instid0(SALU_CYCLE_1)
	s_or_b32 s74, s74, s75
	s_mov_b32 s76, -1
	s_or_b32 s72, s72, exec_lo
	s_and_saveexec_b32 s75, s74
	s_cbranch_execz .LBB2_400
.LBB2_404:                              ;   in Loop: Header=BB2_401 Depth=4
	s_sleep 1
	s_trap 2
	ds_load_b64 v[102:103], v0
	s_wait_dscnt 0x0
	s_and_not1_b32 s72, s72, exec_lo
	v_cmp_ge_u64_e32 vcc_lo, v[102:103], v[12:13]
	s_or_not1_b32 s76, vcc_lo, exec_lo
	s_branch .LBB2_400
.LBB2_405:                              ;   in Loop: Header=BB2_276 Depth=3
	s_or_b32 exec_lo, exec_lo, s62
	s_and_saveexec_b32 s62, s63
	s_delay_alu instid0(SALU_CYCLE_1)
	s_xor_b32 s62, exec_lo, s62
	s_cbranch_execz .LBB2_407
; %bb.406:                              ;   in Loop: Header=BB2_276 Depth=3
	ds_store_b32 v0, v59
	s_trap 2
.LBB2_407:                              ;   in Loop: Header=BB2_276 Depth=3
	s_or_b32 exec_lo, exec_lo, s61
	;;#ASMSTART
	s_wakeup
	;;#ASMEND
.LBB2_408:                              ;   in Loop: Header=BB2_276 Depth=3
	s_or_b32 exec_lo, exec_lo, s60
.LBB2_409:                              ;   in Loop: Header=BB2_276 Depth=3
	s_and_not1_saveexec_b32 s29, s29
	s_cbranch_execz .LBB2_411
; %bb.410:                              ;   in Loop: Header=BB2_276 Depth=3
	;;#ASMSTART
	s_waitcnt lgkmcnt(0) vmcnt(0)
	;;#ASMEND
	s_barrier_signal -1
	s_barrier_wait -1
.LBB2_411:                              ;   in Loop: Header=BB2_276 Depth=3
	s_or_b32 exec_lo, exec_lo, s29
.LBB2_412:                              ;   in Loop: Header=BB2_276 Depth=3
	s_delay_alu instid0(SALU_CYCLE_1) | instskip(SKIP_2) | instid1(SALU_CYCLE_1)
	s_or_b32 exec_lo, exec_lo, s13
	v_cmp_ne_u32_e32 vcc_lo, 0, v3
	s_xor_b32 s13, s4, -1
	s_and_b32 s29, vcc_lo, s13
	s_delay_alu instid0(SALU_CYCLE_1)
	s_and_saveexec_b32 s13, s29
	s_cbranch_execz .LBB2_414
; %bb.413:                              ;   in Loop: Header=BB2_276 Depth=3
	global_wb scope:SCOPE_SYS
	s_wait_storecnt 0x0
	s_wait_loadcnt_dscnt 0x0
	flat_store_b32 v[26:27], v59 scope:SCOPE_SYS
.LBB2_414:                              ;   in Loop: Header=BB2_276 Depth=3
	s_wait_xcnt 0x0
	s_or_b32 exec_lo, exec_lo, s13
	v_and_b32_e32 v3, 48, v30
	s_mov_b32 s13, exec_lo
	s_delay_alu instid0(VALU_DEP_1)
	v_cmpx_ne_u32_e32 0, v3
	s_cbranch_execz .LBB2_275
; %bb.415:                              ;   in Loop: Header=BB2_276 Depth=3
	v_add_nc_u64_e32 v[86:87], 2, v[86:87]
	global_wb scope:SCOPE_SYS
	s_wait_storecnt 0x0
	s_wait_loadcnt_dscnt 0x0
	flat_store_b64 v[20:21], v[86:87] scope:SCOPE_SYS
	s_branch .LBB2_275
.LBB2_416:                              ;   in Loop: Header=BB2_273 Depth=2
	s_or_b32 exec_lo, exec_lo, s16
.LBB2_417:                              ;   in Loop: Header=BB2_273 Depth=2
	s_delay_alu instid0(SALU_CYCLE_1) | instskip(NEXT) | instid1(SALU_CYCLE_1)
	s_or_b32 exec_lo, exec_lo, s15
	s_mov_b32 s15, exec_lo
	v_cmpx_gt_i32_e32 2, v3
	s_cbranch_execz .LBB2_272
; %bb.418:                              ;   in Loop: Header=BB2_273 Depth=2
	v_cmp_eq_u32_e64 s17, 0, v3
	s_mov_b32 s16, 0
	s_branch .LBB2_420
.LBB2_419:                              ;   in Loop: Header=BB2_420 Depth=3
	s_wait_xcnt 0x0
	s_or_b32 exec_lo, exec_lo, s13
	v_add_nc_u32_e32 v10, v8, v10
	s_mov_b32 s17, 0
	s_and_not1_b32 exec_lo, exec_lo, s16
	s_cbranch_execz .LBB2_271
.LBB2_420:                              ;   Parent Loop BB2_47 Depth=1
                                        ;     Parent Loop BB2_273 Depth=2
                                        ; =>    This Loop Header: Depth=3
                                        ;         Child Loop BB2_426 Depth 4
                                        ;         Child Loop BB2_454 Depth 4
	;; [unrolled: 1-line block ×3, first 2 shown]
	s_delay_alu instid0(VALU_DEP_1) | instskip(SKIP_2) | instid1(VALU_DEP_2)
	v_sub_nc_u32_e32 v3, v40, v10
	v_and_b32_e32 v9, 12, v30
	s_mov_b32 s20, exec_lo
	v_min_i32_e32 v8, v8, v3
	s_delay_alu instid0(VALU_DEP_2)
	v_cmpx_ne_u32_e32 0, v9
	s_cbranch_execz .LBB2_446
; %bb.421:                              ;   in Loop: Header=BB2_420 Depth=3
	v_dual_mov_b32 v103, v2 :: v_dual_bitop2_b32 v102, 8, v30 bitop3:0x40
	v_add_nc_u64_e32 v[100:101], 2, v[86:87]
	s_mov_b32 s29, exec_lo
	s_wait_loadcnt_dscnt 0x1
	s_delay_alu instid0(VALU_DEP_2) | instskip(NEXT) | instid1(VALU_DEP_1)
	v_add_nc_u64_e32 v[112:113], v[28:29], v[102:103]
	v_cmpx_lt_u64_e64 v[112:113], v[100:101]
	s_cbranch_execz .LBB2_433
; %bb.422:                              ;   in Loop: Header=BB2_420 Depth=3
	v_and_b32_e32 v3, 64, v30
	s_mov_b32 s60, 0
	s_mov_b32 s72, 0
                                        ; implicit-def: $sgpr61
                                        ; implicit-def: $sgpr62
                                        ; implicit-def: $sgpr63
	s_delay_alu instid0(VALU_DEP_1)
	v_cmp_eq_u32_e32 vcc_lo, 0, v3
	s_branch .LBB2_426
.LBB2_423:                              ;   in Loop: Header=BB2_426 Depth=4
	s_wait_loadcnt_dscnt 0x0
	v_add_nc_u64_e32 v[112:113], v[28:29], v[102:103]
	s_or_b32 s75, s75, exec_lo
	s_delay_alu instid0(VALU_DEP_1)
	v_cmp_ge_u64_e64 s13, v[112:113], v[100:101]
	s_or_not1_b32 s74, s13, exec_lo
.LBB2_424:                              ;   in Loop: Header=BB2_426 Depth=4
	s_or_b32 exec_lo, exec_lo, s77
	s_delay_alu instid0(SALU_CYCLE_1)
	s_and_not1_b32 s13, s63, exec_lo
	s_and_b32 s63, s75, exec_lo
	s_and_not1_b32 s62, s62, exec_lo
	s_and_b32 s74, s74, exec_lo
	s_or_b32 s63, s13, s63
	s_or_b32 s62, s62, s74
.LBB2_425:                              ;   in Loop: Header=BB2_426 Depth=4
	s_or_b32 exec_lo, exec_lo, s73
	s_delay_alu instid0(SALU_CYCLE_1) | instskip(NEXT) | instid1(SALU_CYCLE_1)
	s_and_b32 s13, exec_lo, s62
	s_or_b32 s60, s13, s60
	s_and_not1_b32 s13, s61, exec_lo
	s_and_b32 s61, s63, exec_lo
	s_delay_alu instid0(SALU_CYCLE_1)
	s_or_b32 s61, s13, s61
	s_and_not1_b32 exec_lo, exec_lo, s60
	s_cbranch_execz .LBB2_430
.LBB2_426:                              ;   Parent Loop BB2_47 Depth=1
                                        ;     Parent Loop BB2_273 Depth=2
                                        ;       Parent Loop BB2_420 Depth=3
                                        ; =>      This Inner Loop Header: Depth=4
	s_sleep 1
	s_wait_loadcnt_dscnt 0x0
	flat_load_b64 v[28:29], v[20:21] scope:SCOPE_SYS
	s_or_b32 s63, s63, exec_lo
	s_or_b32 s62, s62, exec_lo
                                        ; implicit-def: $vgpr3
	s_wait_xcnt 0x0
	s_and_saveexec_b32 s73, vcc_lo
	s_cbranch_execz .LBB2_425
; %bb.427:                              ;   in Loop: Header=BB2_426 Depth=4
	s_cmp_lt_i32 s72, 0x270f
	s_mov_b32 s74, -1
	s_cselect_b32 s76, -1, 0
	s_cmp_gt_i32 s72, 0x270e
	s_cbranch_scc0 .LBB2_429
; %bb.428:                              ;   in Loop: Header=BB2_426 Depth=4
	s_trap 2
	ds_load_b64 v[112:113], v0
	s_and_not1_b32 s72, s76, exec_lo
	s_mov_b32 s75, 0
	s_wait_storecnt 0x0
	s_wait_loadcnt_dscnt 0x0
	flat_load_b32 v3, v[112:113] scope:SCOPE_SYS
	s_wait_loadcnt_dscnt 0x0
	global_inv scope:SCOPE_SYS
	v_cmp_eq_u32_e64 s13, 0, v3
	s_and_b32 s13, s13, exec_lo
	s_delay_alu instid0(SALU_CYCLE_1)
	s_or_b32 s76, s72, s13
	s_mov_b32 s72, 0
	s_and_saveexec_b32 s77, s76
	s_cbranch_execz .LBB2_424
	s_branch .LBB2_423
.LBB2_429:                              ;   in Loop: Header=BB2_426 Depth=4
	s_add_co_i32 s72, s72, 1
	s_mov_b32 s75, -1
                                        ; implicit-def: $vgpr3
	s_and_saveexec_b32 s77, s76
	s_cbranch_execz .LBB2_424
	s_branch .LBB2_423
.LBB2_430:                              ;   in Loop: Header=BB2_420 Depth=3
	s_or_b32 exec_lo, exec_lo, s60
	s_xor_b32 s13, s61, -1
	s_delay_alu instid0(SALU_CYCLE_1) | instskip(NEXT) | instid1(SALU_CYCLE_1)
	s_and_saveexec_b32 s60, s13
	s_xor_b32 s13, exec_lo, s60
	s_cbranch_execz .LBB2_432
; %bb.431:                              ;   in Loop: Header=BB2_420 Depth=3
	v_or_b32_e32 v30, 64, v30
	s_wait_storecnt 0x0
	s_wait_loadcnt_dscnt 0x0
	ds_store_b32 v0, v3
	s_trap 2
.LBB2_432:                              ;   in Loop: Header=BB2_420 Depth=3
	s_or_b32 exec_lo, exec_lo, s13
.LBB2_433:                              ;   in Loop: Header=BB2_420 Depth=3
	s_delay_alu instid0(SALU_CYCLE_1) | instskip(SKIP_3) | instid1(VALU_DEP_1)
	s_or_b32 exec_lo, exec_lo, s29
	v_and_b32_e32 v3, 0x108, v30
	s_mov_b32 s13, exec_lo
	;;#ASMSTART
	s_wakeup
	;;#ASMEND
                                        ; implicit-def: $vgpr112_vgpr113
	v_cmpx_ne_u32_e32 0x108, v3
	s_xor_b32 s13, exec_lo, s13
; %bb.434:                              ;   in Loop: Header=BB2_420 Depth=3
	v_dual_mov_b32 v113, v2 :: v_dual_bitop2_b32 v112, 7, v86 bitop3:0x40
                                        ; implicit-def: $vgpr86_vgpr87
; %bb.435:                              ;   in Loop: Header=BB2_420 Depth=3
	s_and_not1_saveexec_b32 s13, s13
	s_cbranch_execz .LBB2_437
; %bb.436:                              ;   in Loop: Header=BB2_420 Depth=3
	v_dual_ashrrev_i32 v9, 31, v8 :: v_dual_bitop2_b32 v112, 7, v86 bitop3:0x40
	v_mov_b32_e32 v113, v2
	s_delay_alu instid0(VALU_DEP_2) | instskip(NEXT) | instid1(VALU_DEP_3)
	v_mad_nc_u64_u32 v[86:87], v112, 24, v[6:7]
	v_lshlrev_b64_e32 v[114:115], 2, v[8:9]
	flat_store_b64 v[86:87], v[114:115] offset:8
.LBB2_437:                              ;   in Loop: Header=BB2_420 Depth=3
	s_wait_xcnt 0x0
	s_or_b32 exec_lo, exec_lo, s13
	v_and_b32_e32 v3, 0x100, v30
	s_mov_b32 s13, -1
	s_mov_b32 s29, exec_lo
                                        ; implicit-def: $vgpr86_vgpr87
	s_delay_alu instid0(VALU_DEP_1)
	v_cmpx_ne_u32_e32 0, v3
	s_cbranch_execz .LBB2_441
; %bb.438:                              ;   in Loop: Header=BB2_420 Depth=3
	v_mad_nc_u64_u32 v[114:115], v112, 24, v[6:7]
	s_mov_b32 s60, exec_lo
                                        ; implicit-def: $vgpr86_vgpr87
	s_delay_alu instid0(VALU_DEP_1)
	v_mad_u32 v115, v113, 24, v115
	flat_load_b32 v3, v[114:115]
	s_wait_loadcnt_dscnt 0x0
	v_cmp_ne_u32_e32 vcc_lo, 1, v3
	s_wait_xcnt 0x0
	v_cmpx_eq_u32_e32 1, v3
	s_cbranch_execz .LBB2_440
; %bb.439:                              ;   in Loop: Header=BB2_420 Depth=3
	flat_load_b32 v86, v[114:115] offset:4 scope:SCOPE_SYS
	s_wait_loadcnt_dscnt 0x0
	v_ashrrev_i32_e32 v87, 31, v86
	s_delay_alu instid0(VALU_DEP_1)
	v_lshrrev_b64 v[86:87], 2, v[86:87]
.LBB2_440:                              ;   in Loop: Header=BB2_420 Depth=3
	s_wait_xcnt 0x0
	s_or_b32 exec_lo, exec_lo, s60
	s_delay_alu instid0(SALU_CYCLE_1)
	s_or_not1_b32 s13, vcc_lo, exec_lo
.LBB2_441:                              ;   in Loop: Header=BB2_420 Depth=3
	s_or_b32 exec_lo, exec_lo, s29
	s_and_saveexec_b32 s29, s13
; %bb.442:                              ;   in Loop: Header=BB2_420 Depth=3
	v_mul_u64_e32 v[86:87], v[112:113], v[22:23]
; %bb.443:                              ;   in Loop: Header=BB2_420 Depth=3
	s_or_b32 exec_lo, exec_lo, s29
	v_cmp_eq_u32_e32 vcc_lo, 0, v102
	v_and_b32_e32 v9, 0x2000, v30
	s_delay_alu instid0(VALU_DEP_3) | instskip(SKIP_2) | instid1(VALU_DEP_1)
	v_lshl_add_u64 v[86:87], v[86:87], 2, v[24:25]
	s_mov_b32 s13, exec_lo
	v_cndmask_b32_e32 v3, 0xc8, v60, vcc_lo
	v_add_nc_u32_e32 v3, v0, v3
	ds_store_b64 v3, v[86:87] offset:584
	v_cmpx_ne_u32_e32 0, v9
	s_cbranch_execz .LBB2_445
; %bb.444:                              ;   in Loop: Header=BB2_420 Depth=3
	ds_load_b64 v[86:87], v0 offset:872
	s_wait_dscnt 0x0
	v_add_nc_u64_e32 v[86:87], 1, v[86:87]
	ds_store_b64 v0, v[86:87] offset:872
.LBB2_445:                              ;   in Loop: Header=BB2_420 Depth=3
	s_or_b32 exec_lo, exec_lo, s13
	v_mov_b64_e32 v[86:87], v[100:101]
.LBB2_446:                              ;   in Loop: Header=BB2_420 Depth=3
	s_or_b32 exec_lo, exec_lo, s20
	s_xor_b32 s13, s17, -1
	s_delay_alu instid0(SALU_CYCLE_1) | instskip(NEXT) | instid1(SALU_CYCLE_1)
	s_and_b32 s13, exec_lo, s13
	s_or_b32 s16, s13, s16
	s_and_saveexec_b32 s13, s2
	s_cbranch_execz .LBB2_465
; %bb.447:                              ;   in Loop: Header=BB2_420 Depth=3
	s_and_saveexec_b32 s17, s3
	s_delay_alu instid0(SALU_CYCLE_1)
	s_xor_b32 s17, exec_lo, s17
	s_cbranch_execz .LBB2_462
; %bb.448:                              ;   in Loop: Header=BB2_420 Depth=3
	s_and_saveexec_b32 s20, s6
	s_cbranch_execz .LBB2_461
; %bb.449:                              ;   in Loop: Header=BB2_420 Depth=3
	s_mov_b32 s60, exec_lo
	s_mov_b32 s29, exec_lo
	v_mbcnt_lo_u32_b32 v3, s60, 0
	global_wb scope:SCOPE_DEV
	s_wait_storecnt 0x0
	s_wait_loadcnt_dscnt 0x0
	global_inv scope:SCOPE_DEV
	v_cmpx_eq_u32_e32 0, v3
	s_cbranch_execz .LBB2_451
; %bb.450:                              ;   in Loop: Header=BB2_420 Depth=3
	s_bcnt1_i32_b32 s60, s60
	s_delay_alu instid0(SALU_CYCLE_1)
	v_dual_mov_b32 v101, v2 :: v_dual_mov_b32 v100, s60
	s_wait_loadcnt 0x0
	ds_add_u64 v0, v[100:101]
	s_trap 2
.LBB2_451:                              ;   in Loop: Header=BB2_420 Depth=3
	s_or_b32 exec_lo, exec_lo, s29
	s_trap 2
	ds_load_b64 v[100:101], v0
	s_wait_dscnt 0x0
	v_add_nc_u64_e32 v[12:13], v[12:13], v[32:33]
	s_mov_b32 s29, exec_lo
	s_delay_alu instid0(VALU_DEP_1)
	v_cmpx_lt_u64_e64 v[100:101], v[12:13]
	s_cbranch_execz .LBB2_460
; %bb.452:                              ;   in Loop: Header=BB2_420 Depth=3
	s_mov_b32 s60, 0
	s_mov_b32 s63, 0
                                        ; implicit-def: $sgpr61
                                        ; implicit-def: $sgpr62
	s_branch .LBB2_454
.LBB2_453:                              ;   in Loop: Header=BB2_454 Depth=4
	s_or_b32 exec_lo, exec_lo, s73
	s_delay_alu instid0(SALU_CYCLE_1) | instskip(NEXT) | instid1(SALU_CYCLE_1)
	s_and_b32 s72, exec_lo, s74
	s_or_b32 s60, s72, s60
	s_and_not1_b32 s61, s61, exec_lo
	s_and_b32 s72, s62, exec_lo
	s_delay_alu instid0(SALU_CYCLE_1)
	s_or_b32 s61, s61, s72
	s_and_not1_b32 exec_lo, exec_lo, s60
	s_cbranch_execz .LBB2_458
.LBB2_454:                              ;   Parent Loop BB2_47 Depth=1
                                        ;     Parent Loop BB2_273 Depth=2
                                        ;       Parent Loop BB2_420 Depth=3
                                        ; =>      This Inner Loop Header: Depth=4
	s_add_co_i32 s63, s63, 1
	s_delay_alu instid0(SALU_CYCLE_1) | instskip(SKIP_1) | instid1(SALU_CYCLE_1)
	s_cmp_lg_u32 s63, 0x2710
	s_cselect_b32 s72, -1, 0
	s_and_b32 vcc_lo, exec_lo, s72
	s_cbranch_vccz .LBB2_456
; %bb.455:                              ;   in Loop: Header=BB2_454 Depth=4
	s_mov_b32 s74, -1
	s_or_b32 s62, s62, exec_lo
	s_and_saveexec_b32 s73, s72
	s_cbranch_execz .LBB2_453
	s_branch .LBB2_457
.LBB2_456:                              ;   in Loop: Header=BB2_454 Depth=4
	s_trap 2
	ds_load_b64 v[100:101], v0
	s_and_not1_b32 s72, s72, exec_lo
	s_mov_b32 s63, 0
	s_wait_loadcnt_dscnt 0x0
	flat_load_b32 v3, v[100:101] scope:SCOPE_SYS
	s_wait_loadcnt_dscnt 0x0
	global_inv scope:SCOPE_SYS
	v_cmp_eq_u32_e32 vcc_lo, 0, v3
	s_and_b32 s73, vcc_lo, exec_lo
	s_delay_alu instid0(SALU_CYCLE_1)
	s_or_b32 s72, s72, s73
	s_mov_b32 s74, -1
	s_or_b32 s62, s62, exec_lo
	s_and_saveexec_b32 s73, s72
	s_cbranch_execz .LBB2_453
.LBB2_457:                              ;   in Loop: Header=BB2_454 Depth=4
	s_sleep 1
	s_trap 2
	ds_load_b64 v[100:101], v0
	s_wait_dscnt 0x0
	s_and_not1_b32 s62, s62, exec_lo
	v_cmp_ge_u64_e32 vcc_lo, v[100:101], v[12:13]
	s_or_not1_b32 s74, vcc_lo, exec_lo
	s_branch .LBB2_453
.LBB2_458:                              ;   in Loop: Header=BB2_420 Depth=3
	s_or_b32 exec_lo, exec_lo, s60
	s_and_saveexec_b32 s60, s61
	s_delay_alu instid0(SALU_CYCLE_1)
	s_xor_b32 s60, exec_lo, s60
	s_cbranch_execz .LBB2_460
; %bb.459:                              ;   in Loop: Header=BB2_420 Depth=3
	ds_store_b32 v0, v59
	s_trap 2
.LBB2_460:                              ;   in Loop: Header=BB2_420 Depth=3
	s_or_b32 exec_lo, exec_lo, s29
	;;#ASMSTART
	s_wakeup
	;;#ASMEND
.LBB2_461:                              ;   in Loop: Header=BB2_420 Depth=3
	s_or_b32 exec_lo, exec_lo, s20
.LBB2_462:                              ;   in Loop: Header=BB2_420 Depth=3
	s_and_not1_saveexec_b32 s17, s17
	s_cbranch_execz .LBB2_464
; %bb.463:                              ;   in Loop: Header=BB2_420 Depth=3
	global_wb scope:SCOPE_DEV
	s_wait_storecnt 0x0
	s_wait_loadcnt_dscnt 0x0
	global_inv scope:SCOPE_DEV
	s_barrier_signal -1
	s_barrier_wait -1
.LBB2_464:                              ;   in Loop: Header=BB2_420 Depth=3
	s_or_b32 exec_lo, exec_lo, s17
.LBB2_465:                              ;   in Loop: Header=BB2_420 Depth=3
	s_delay_alu instid0(SALU_CYCLE_1) | instskip(SKIP_1) | instid1(SALU_CYCLE_1)
	s_or_b32 exec_lo, exec_lo, s13
                                        ; implicit-def: $vgpr3
	s_and_saveexec_b32 s13, s47
	s_xor_b32 s13, exec_lo, s13
	s_cbranch_execz .LBB2_477
; %bb.466:                              ;   in Loop: Header=BB2_420 Depth=3
	s_and_saveexec_b32 s17, s3
	s_delay_alu instid0(SALU_CYCLE_1)
	s_xor_b32 s17, exec_lo, s17
	s_cbranch_execz .LBB2_482
; %bb.467:                              ;   in Loop: Header=BB2_420 Depth=3
	s_and_saveexec_b32 s20, s6
	s_cbranch_execz .LBB2_481
; %bb.468:                              ;   in Loop: Header=BB2_420 Depth=3
	s_mov_b32 s60, exec_lo
	s_mov_b32 s29, exec_lo
	v_mbcnt_lo_u32_b32 v3, s60, 0
	;;#ASMSTART
	s_waitcnt lgkmcnt(0) vmcnt(0)
	;;#ASMEND
	s_delay_alu instid0(VALU_DEP_1)
	v_cmpx_eq_u32_e32 0, v3
	s_cbranch_execz .LBB2_470
; %bb.469:                              ;   in Loop: Header=BB2_420 Depth=3
	s_bcnt1_i32_b32 s60, s60
	s_delay_alu instid0(SALU_CYCLE_1)
	v_dual_mov_b32 v101, v2 :: v_dual_mov_b32 v100, s60
	s_wait_storecnt 0x0
	s_wait_loadcnt_dscnt 0x0
	ds_add_u64 v0, v[100:101]
	s_trap 2
.LBB2_470:                              ;   in Loop: Header=BB2_420 Depth=3
	s_or_b32 exec_lo, exec_lo, s29
	s_trap 2
	ds_load_b64 v[100:101], v0
	s_wait_dscnt 0x0
	v_add_nc_u64_e32 v[12:13], v[12:13], v[32:33]
	s_mov_b32 s29, exec_lo
	s_delay_alu instid0(VALU_DEP_1)
	v_cmpx_lt_u64_e64 v[100:101], v[12:13]
	s_cbranch_execz .LBB2_480
; %bb.471:                              ;   in Loop: Header=BB2_420 Depth=3
	s_mov_b32 s60, 0
	s_mov_b32 s63, 0
                                        ; implicit-def: $sgpr61
                                        ; implicit-def: $sgpr62
	s_branch .LBB2_473
.LBB2_472:                              ;   in Loop: Header=BB2_473 Depth=4
	s_or_b32 exec_lo, exec_lo, s73
	s_delay_alu instid0(SALU_CYCLE_1) | instskip(NEXT) | instid1(SALU_CYCLE_1)
	s_and_b32 s72, exec_lo, s74
	s_or_b32 s60, s72, s60
	s_and_not1_b32 s61, s61, exec_lo
	s_and_b32 s72, s62, exec_lo
	s_delay_alu instid0(SALU_CYCLE_1)
	s_or_b32 s61, s61, s72
	s_and_not1_b32 exec_lo, exec_lo, s60
	s_cbranch_execz .LBB2_478
.LBB2_473:                              ;   Parent Loop BB2_47 Depth=1
                                        ;     Parent Loop BB2_273 Depth=2
                                        ;       Parent Loop BB2_420 Depth=3
                                        ; =>      This Inner Loop Header: Depth=4
	s_add_co_i32 s63, s63, 1
	s_delay_alu instid0(SALU_CYCLE_1) | instskip(SKIP_1) | instid1(SALU_CYCLE_1)
	s_cmp_lg_u32 s63, 0x2710
	s_cselect_b32 s72, -1, 0
	s_and_b32 vcc_lo, exec_lo, s72
	s_cbranch_vccz .LBB2_475
; %bb.474:                              ;   in Loop: Header=BB2_473 Depth=4
	s_mov_b32 s74, -1
	s_or_b32 s62, s62, exec_lo
	s_and_saveexec_b32 s73, s72
	s_cbranch_execz .LBB2_472
	s_branch .LBB2_476
.LBB2_475:                              ;   in Loop: Header=BB2_473 Depth=4
	s_trap 2
	ds_load_b64 v[100:101], v0
	s_and_not1_b32 s72, s72, exec_lo
	s_mov_b32 s63, 0
	s_wait_storecnt 0x0
	s_wait_loadcnt_dscnt 0x0
	flat_load_b32 v3, v[100:101] scope:SCOPE_SYS
	s_wait_loadcnt_dscnt 0x0
	global_inv scope:SCOPE_SYS
	v_cmp_eq_u32_e32 vcc_lo, 0, v3
	s_and_b32 s73, vcc_lo, exec_lo
	s_delay_alu instid0(SALU_CYCLE_1)
	s_or_b32 s72, s72, s73
	s_mov_b32 s74, -1
	s_or_b32 s62, s62, exec_lo
	s_and_saveexec_b32 s73, s72
	s_cbranch_execz .LBB2_472
.LBB2_476:                              ;   in Loop: Header=BB2_473 Depth=4
	s_sleep 1
	s_trap 2
	ds_load_b64 v[100:101], v0
	s_wait_dscnt 0x0
	s_and_not1_b32 s62, s62, exec_lo
	v_cmp_ge_u64_e32 vcc_lo, v[100:101], v[12:13]
	s_or_not1_b32 s74, vcc_lo, exec_lo
	s_branch .LBB2_472
.LBB2_477:                              ;   in Loop: Header=BB2_420 Depth=3
	s_and_not1_saveexec_b32 s17, s13
	s_cbranch_execnz .LBB2_485
	s_branch .LBB2_488
.LBB2_478:                              ;   in Loop: Header=BB2_420 Depth=3
	s_or_b32 exec_lo, exec_lo, s60
	s_and_saveexec_b32 s60, s61
	s_delay_alu instid0(SALU_CYCLE_1)
	s_xor_b32 s60, exec_lo, s60
	s_cbranch_execz .LBB2_480
; %bb.479:                              ;   in Loop: Header=BB2_420 Depth=3
	ds_store_b32 v0, v59
	s_trap 2
.LBB2_480:                              ;   in Loop: Header=BB2_420 Depth=3
	s_or_b32 exec_lo, exec_lo, s29
	;;#ASMSTART
	s_wakeup
	;;#ASMEND
.LBB2_481:                              ;   in Loop: Header=BB2_420 Depth=3
	s_or_b32 exec_lo, exec_lo, s20
.LBB2_482:                              ;   in Loop: Header=BB2_420 Depth=3
	s_and_not1_saveexec_b32 s17, s17
	s_cbranch_execz .LBB2_484
; %bb.483:                              ;   in Loop: Header=BB2_420 Depth=3
	;;#ASMSTART
	s_waitcnt lgkmcnt(0) vmcnt(0)
	;;#ASMEND
	s_barrier_signal -1
	s_barrier_wait -1
.LBB2_484:                              ;   in Loop: Header=BB2_420 Depth=3
	s_or_b32 exec_lo, exec_lo, s17
	v_and_b32_e32 v3, 16, v30
	s_and_not1_saveexec_b32 s17, s13
	s_cbranch_execz .LBB2_488
.LBB2_485:                              ;   in Loop: Header=BB2_420 Depth=3
	s_trap 2
	ds_load_b32 v3, v0
	v_cmp_lt_i32_e32 vcc_lo, 0, v8
	s_wait_dscnt 0x0
	v_readfirstlane_b32 s13, v3
	v_and_b32_e32 v3, 16, v30
	s_cmp_eq_u32 s13, 0
	s_delay_alu instid0(VALU_DEP_1) | instskip(SKIP_3) | instid1(SALU_CYCLE_1)
	v_cmp_ne_u32_e64 s13, 0, v3
	s_cselect_b32 s20, -1, 0
	v_and_b32_e32 v3, 16, v30
	s_and_b32 s20, vcc_lo, s20
	s_and_b32 s20, s13, s20
	s_delay_alu instid0(SALU_CYCLE_1)
	s_and_saveexec_b32 s13, s20
	s_cbranch_execz .LBB2_487
; %bb.486:                              ;   in Loop: Header=BB2_420 Depth=3
	v_mov_b32_e32 v3, 1
	global_wb scope:SCOPE_SYS
	s_wait_loadcnt 0x0
	s_wait_storecnt 0x0
	global_inv scope:SCOPE_SYS
.LBB2_487:                              ;   in Loop: Header=BB2_420 Depth=3
	s_or_b32 exec_lo, exec_lo, s13
.LBB2_488:                              ;   in Loop: Header=BB2_420 Depth=3
	s_delay_alu instid0(SALU_CYCLE_1) | instskip(NEXT) | instid1(VALU_DEP_1)
	s_or_b32 exec_lo, exec_lo, s17
	v_cmp_ne_u32_e32 vcc_lo, 0, v3
	s_xor_b32 s13, s4, -1
	s_delay_alu instid0(SALU_CYCLE_1) | instskip(NEXT) | instid1(SALU_CYCLE_1)
	s_and_b32 s17, vcc_lo, s13
	s_and_saveexec_b32 s13, s17
	s_cbranch_execz .LBB2_490
; %bb.489:                              ;   in Loop: Header=BB2_420 Depth=3
	global_wb scope:SCOPE_SYS
	s_wait_storecnt 0x0
	s_wait_loadcnt_dscnt 0x0
	flat_store_b32 v[26:27], v59 scope:SCOPE_SYS
.LBB2_490:                              ;   in Loop: Header=BB2_420 Depth=3
	s_wait_xcnt 0x0
	s_or_b32 exec_lo, exec_lo, s13
	v_and_b32_e32 v3, 48, v30
	s_mov_b32 s13, exec_lo
	s_delay_alu instid0(VALU_DEP_1)
	v_cmpx_ne_u32_e32 0, v3
	s_cbranch_execz .LBB2_419
; %bb.491:                              ;   in Loop: Header=BB2_420 Depth=3
	v_add_nc_u64_e32 v[86:87], 2, v[86:87]
	global_wb scope:SCOPE_SYS
	s_wait_storecnt 0x0
	s_wait_loadcnt_dscnt 0x0
	flat_store_b64 v[20:21], v[86:87] scope:SCOPE_SYS
	s_branch .LBB2_419
.LBB2_492:                              ;   in Loop: Header=BB2_47 Depth=1
	v_mul_u64_e32 v[8:9], s[18:19], v[84:85]
	v_mov_b32_e32 v102, 0
	s_delay_alu instid0(VALU_DEP_2) | instskip(NEXT) | instid1(VALU_DEP_1)
	v_sub_nc_u64_e32 v[10:11], v[96:97], v[8:9]
	v_min_i64 v[10:11], v[84:85], v[10:11]
	s_delay_alu instid0(VALU_DEP_1) | instskip(SKIP_1) | instid1(VALU_DEP_2)
	v_max_i32_e32 v62, 0, v10
	v_cmp_lt_i32_e32 vcc_lo, 0, v10
	v_add_nc_u32_e32 v3, 31, v62
	s_and_b32 s13, s57, vcc_lo
	s_delay_alu instid0(VALU_DEP_1) | instskip(NEXT) | instid1(VALU_DEP_1)
	v_lshrrev_b32_e32 v3, 1, v3
	v_and_b32_e32 v11, 0x3ffffff0, v3
	s_delay_alu instid0(VALU_DEP_1)
	v_dual_mov_b32 v3, 0 :: v_dual_max_i32 v100, s45, v11
	s_and_saveexec_b32 s29, s13
	s_cbranch_execz .LBB2_675
; %bb.493:                              ;   in Loop: Header=BB2_47 Depth=1
	v_add_nc_u64_e32 v[8:9], v[8:9], v[98:99]
	v_mov_b32_e32 v102, 0
	s_mov_b32 s62, 1
	s_mov_b32 s61, -1
	s_mov_b32 s60, 0
	s_delay_alu instid0(VALU_DEP_2)
	v_lshlrev_b64_e32 v[112:113], 2, v[8:9]
	s_branch .LBB2_495
.LBB2_494:                              ;   in Loop: Header=BB2_495 Depth=2
	s_wait_xcnt 0x0
	s_or_b32 exec_lo, exec_lo, s13
	v_dual_mov_b32 v3, s62 :: v_dual_add_nc_u32 v102, v100, v102
	s_xor_b32 s13, s61, -1
	s_mov_b32 s61, 0
	s_mov_b32 s62, 2
	s_delay_alu instid0(VALU_DEP_1) | instskip(SKIP_1) | instid1(SALU_CYCLE_1)
	v_cmp_ge_i32_e32 vcc_lo, v102, v62
	s_or_b32 s13, s13, vcc_lo
	s_and_b32 s13, exec_lo, s13
	s_delay_alu instid0(SALU_CYCLE_1) | instskip(NEXT) | instid1(SALU_CYCLE_1)
	s_or_b32 s60, s13, s60
	s_and_not1_b32 exec_lo, exec_lo, s60
	s_cbranch_execz .LBB2_674
.LBB2_495:                              ;   Parent Loop BB2_47 Depth=1
                                        ; =>  This Loop Header: Depth=2
                                        ;       Child Loop BB2_503 Depth 3
                                        ;       Child Loop BB2_531 Depth 3
	;; [unrolled: 1-line block ×4, first 2 shown]
                                        ;         Child Loop BB2_573 Depth 4
                                        ;       Child Loop BB2_579 Depth 3
                                        ;         Child Loop BB2_580 Depth 4
                                        ;       Child Loop BB2_590 Depth 3
                                        ;       Child Loop BB2_595 Depth 3
                                        ;         Child Loop BB2_596 Depth 4
                                        ;       Child Loop BB2_608 Depth 3
                                        ;       Child Loop BB2_613 Depth 3
	;; [unrolled: 1-line block ×6, first 2 shown]
	s_and_saveexec_b32 s13, s0
	s_cbranch_execz .LBB2_497
; %bb.496:                              ;   in Loop: Header=BB2_495 Depth=2
	s_trap 2
	ds_load_b64 v[114:115], v0
	ds_load_2addr_b64 v[8:11], v0 offset1:1
	s_wait_dscnt 0x1
	v_cmp_ne_u64_e32 vcc_lo, 0, v[114:115]
	v_ashrrev_i32_e32 v103, 31, v102
	v_add_nc_u64_e32 v[118:119], v[114:115], v[112:113]
	s_wait_dscnt 0x0
	v_add_nc_u64_e32 v[8:9], v[8:9], v[112:113]
	v_add_nc_u64_e32 v[10:11], v[10:11], v[112:113]
	v_lshlrev_b64_e32 v[116:117], 2, v[102:103]
	s_delay_alu instid0(VALU_DEP_1) | instskip(NEXT) | instid1(VALU_DEP_4)
	v_add_nc_u64_e32 v[118:119], v[118:119], v[116:117]
	v_add_nc_u64_e32 v[8:9], v[8:9], v[116:117]
	s_delay_alu instid0(VALU_DEP_4) | instskip(NEXT) | instid1(VALU_DEP_3)
	v_add_nc_u64_e32 v[10:11], v[10:11], v[116:117]
	v_dual_cndmask_b32 v115, 0, v119 :: v_dual_cndmask_b32 v114, 0, v118
	ds_store_b64 v0, v[8:9]
	ds_store_b64 v0, v[10:11]
	;; [unrolled: 1-line block ×3, first 2 shown]
.LBB2_497:                              ;   in Loop: Header=BB2_495 Depth=2
	s_or_b32 exec_lo, exec_lo, s13
	v_sub_nc_u32_e32 v3, v62, v102
	v_and_b32_e32 v8, 12, v30
	s_mov_b32 s14, exec_lo
	s_delay_alu instid0(VALU_DEP_2) | instskip(NEXT) | instid1(VALU_DEP_2)
	v_min_i32_e32 v100, v100, v3
	v_cmpx_ne_u32_e32 0, v8
	s_cbranch_execz .LBB2_523
; %bb.498:                              ;   in Loop: Header=BB2_495 Depth=2
	v_dual_mov_b32 v11, v2 :: v_dual_bitop2_b32 v10, 8, v30 bitop3:0x40
	v_add_nc_u64_e32 v[8:9], 2, v[86:87]
	s_mov_b32 s15, exec_lo
	s_wait_loadcnt_dscnt 0x1
	s_delay_alu instid0(VALU_DEP_2) | instskip(NEXT) | instid1(VALU_DEP_1)
	v_add_nc_u64_e32 v[114:115], v[28:29], v[10:11]
	v_cmpx_lt_u64_e64 v[114:115], v[8:9]
	s_cbranch_execz .LBB2_510
; %bb.499:                              ;   in Loop: Header=BB2_495 Depth=2
	v_and_b32_e32 v3, 64, v30
	s_mov_b32 s16, 0
	s_mov_b32 s72, 0
                                        ; implicit-def: $sgpr17
                                        ; implicit-def: $sgpr20
                                        ; implicit-def: $sgpr63
	s_delay_alu instid0(VALU_DEP_1)
	v_cmp_eq_u32_e32 vcc_lo, 0, v3
	s_branch .LBB2_503
.LBB2_500:                              ;   in Loop: Header=BB2_503 Depth=3
	s_wait_loadcnt_dscnt 0x0
	v_add_nc_u64_e32 v[114:115], v[28:29], v[10:11]
	s_or_b32 s75, s75, exec_lo
	s_delay_alu instid0(VALU_DEP_1)
	v_cmp_ge_u64_e64 s13, v[114:115], v[8:9]
	s_or_not1_b32 s74, s13, exec_lo
.LBB2_501:                              ;   in Loop: Header=BB2_503 Depth=3
	s_or_b32 exec_lo, exec_lo, s77
	s_delay_alu instid0(SALU_CYCLE_1)
	s_and_not1_b32 s13, s63, exec_lo
	s_and_b32 s63, s75, exec_lo
	s_and_not1_b32 s20, s20, exec_lo
	s_and_b32 s74, s74, exec_lo
	s_or_b32 s63, s13, s63
	s_or_b32 s20, s20, s74
.LBB2_502:                              ;   in Loop: Header=BB2_503 Depth=3
	s_or_b32 exec_lo, exec_lo, s73
	s_delay_alu instid0(SALU_CYCLE_1) | instskip(NEXT) | instid1(SALU_CYCLE_1)
	s_and_b32 s13, exec_lo, s20
	s_or_b32 s16, s13, s16
	s_and_not1_b32 s13, s17, exec_lo
	s_and_b32 s17, s63, exec_lo
	s_delay_alu instid0(SALU_CYCLE_1)
	s_or_b32 s17, s13, s17
	s_and_not1_b32 exec_lo, exec_lo, s16
	s_cbranch_execz .LBB2_507
.LBB2_503:                              ;   Parent Loop BB2_47 Depth=1
                                        ;     Parent Loop BB2_495 Depth=2
                                        ; =>    This Inner Loop Header: Depth=3
	s_sleep 1
	s_wait_loadcnt_dscnt 0x0
	flat_load_b64 v[28:29], v[20:21] scope:SCOPE_SYS
	s_or_b32 s63, s63, exec_lo
	s_or_b32 s20, s20, exec_lo
                                        ; implicit-def: $vgpr3
	s_wait_xcnt 0x0
	s_and_saveexec_b32 s73, vcc_lo
	s_cbranch_execz .LBB2_502
; %bb.504:                              ;   in Loop: Header=BB2_503 Depth=3
	s_cmp_lt_i32 s72, 0x270f
	s_mov_b32 s74, -1
	s_cselect_b32 s76, -1, 0
	s_cmp_gt_i32 s72, 0x270e
	s_cbranch_scc0 .LBB2_506
; %bb.505:                              ;   in Loop: Header=BB2_503 Depth=3
	s_trap 2
	ds_load_b64 v[114:115], v0
	s_and_not1_b32 s72, s76, exec_lo
	s_mov_b32 s75, 0
	s_wait_storecnt 0x0
	s_wait_loadcnt_dscnt 0x0
	flat_load_b32 v3, v[114:115] scope:SCOPE_SYS
	s_wait_loadcnt_dscnt 0x0
	global_inv scope:SCOPE_SYS
	v_cmp_eq_u32_e64 s13, 0, v3
	s_and_b32 s13, s13, exec_lo
	s_delay_alu instid0(SALU_CYCLE_1)
	s_or_b32 s76, s72, s13
	s_mov_b32 s72, 0
	s_and_saveexec_b32 s77, s76
	s_cbranch_execz .LBB2_501
	s_branch .LBB2_500
.LBB2_506:                              ;   in Loop: Header=BB2_503 Depth=3
	s_add_co_i32 s72, s72, 1
	s_mov_b32 s75, -1
                                        ; implicit-def: $vgpr3
	s_and_saveexec_b32 s77, s76
	s_cbranch_execz .LBB2_501
	s_branch .LBB2_500
.LBB2_507:                              ;   in Loop: Header=BB2_495 Depth=2
	s_or_b32 exec_lo, exec_lo, s16
	s_xor_b32 s13, s17, -1
	s_delay_alu instid0(SALU_CYCLE_1) | instskip(NEXT) | instid1(SALU_CYCLE_1)
	s_and_saveexec_b32 s16, s13
	s_xor_b32 s13, exec_lo, s16
	s_cbranch_execz .LBB2_509
; %bb.508:                              ;   in Loop: Header=BB2_495 Depth=2
	v_or_b32_e32 v30, 64, v30
	s_wait_storecnt 0x0
	s_wait_loadcnt_dscnt 0x0
	ds_store_b32 v0, v3
	s_trap 2
.LBB2_509:                              ;   in Loop: Header=BB2_495 Depth=2
	s_or_b32 exec_lo, exec_lo, s13
.LBB2_510:                              ;   in Loop: Header=BB2_495 Depth=2
	s_delay_alu instid0(SALU_CYCLE_1) | instskip(SKIP_3) | instid1(VALU_DEP_1)
	s_or_b32 exec_lo, exec_lo, s15
	v_and_b32_e32 v3, 0x108, v30
	s_mov_b32 s13, exec_lo
	;;#ASMSTART
	s_wakeup
	;;#ASMEND
                                        ; implicit-def: $vgpr114_vgpr115
	v_cmpx_ne_u32_e32 0x108, v3
	s_xor_b32 s13, exec_lo, s13
; %bb.511:                              ;   in Loop: Header=BB2_495 Depth=2
	v_dual_mov_b32 v115, v2 :: v_dual_bitop2_b32 v114, 7, v86 bitop3:0x40
                                        ; implicit-def: $vgpr86_vgpr87
; %bb.512:                              ;   in Loop: Header=BB2_495 Depth=2
	s_and_not1_saveexec_b32 s13, s13
	s_cbranch_execz .LBB2_514
; %bb.513:                              ;   in Loop: Header=BB2_495 Depth=2
	v_dual_ashrrev_i32 v101, 31, v100 :: v_dual_bitop2_b32 v114, 7, v86 bitop3:0x40
	v_mov_b32_e32 v115, v2
	s_delay_alu instid0(VALU_DEP_2) | instskip(NEXT) | instid1(VALU_DEP_3)
	v_mad_nc_u64_u32 v[86:87], v114, 24, v[6:7]
	v_lshlrev_b64_e32 v[116:117], 2, v[100:101]
	flat_store_b64 v[86:87], v[116:117] offset:8
.LBB2_514:                              ;   in Loop: Header=BB2_495 Depth=2
	s_wait_xcnt 0x0
	s_or_b32 exec_lo, exec_lo, s13
	v_and_b32_e32 v3, 0x100, v30
	s_mov_b32 s13, -1
	s_mov_b32 s15, exec_lo
                                        ; implicit-def: $vgpr86_vgpr87
	s_delay_alu instid0(VALU_DEP_1)
	v_cmpx_ne_u32_e32 0, v3
	s_cbranch_execz .LBB2_518
; %bb.515:                              ;   in Loop: Header=BB2_495 Depth=2
	v_mad_nc_u64_u32 v[116:117], v114, 24, v[6:7]
	s_mov_b32 s16, exec_lo
                                        ; implicit-def: $vgpr86_vgpr87
	s_delay_alu instid0(VALU_DEP_1)
	v_mad_u32 v117, v115, 24, v117
	flat_load_b32 v3, v[116:117]
	s_wait_loadcnt_dscnt 0x0
	v_cmp_ne_u32_e32 vcc_lo, 1, v3
	s_wait_xcnt 0x0
	v_cmpx_eq_u32_e32 1, v3
	s_cbranch_execz .LBB2_517
; %bb.516:                              ;   in Loop: Header=BB2_495 Depth=2
	flat_load_b32 v86, v[116:117] offset:4 scope:SCOPE_SYS
	s_wait_loadcnt_dscnt 0x0
	v_ashrrev_i32_e32 v87, 31, v86
	s_delay_alu instid0(VALU_DEP_1)
	v_lshrrev_b64 v[86:87], 2, v[86:87]
.LBB2_517:                              ;   in Loop: Header=BB2_495 Depth=2
	s_wait_xcnt 0x0
	s_or_b32 exec_lo, exec_lo, s16
	s_delay_alu instid0(SALU_CYCLE_1)
	s_or_not1_b32 s13, vcc_lo, exec_lo
.LBB2_518:                              ;   in Loop: Header=BB2_495 Depth=2
	s_or_b32 exec_lo, exec_lo, s15
	s_and_saveexec_b32 s15, s13
; %bb.519:                              ;   in Loop: Header=BB2_495 Depth=2
	v_mul_u64_e32 v[86:87], v[114:115], v[22:23]
; %bb.520:                              ;   in Loop: Header=BB2_495 Depth=2
	s_or_b32 exec_lo, exec_lo, s15
	v_cmp_eq_u32_e32 vcc_lo, 0, v10
	v_and_b32_e32 v101, 0x2000, v30
	s_delay_alu instid0(VALU_DEP_3) | instskip(SKIP_2) | instid1(VALU_DEP_1)
	v_lshl_add_u64 v[10:11], v[86:87], 2, v[24:25]
	s_mov_b32 s13, exec_lo
	v_cndmask_b32_e32 v3, 0xd0, v60, vcc_lo
	v_add_nc_u32_e32 v3, v0, v3
	ds_store_b64 v3, v[10:11] offset:584
	v_cmpx_ne_u32_e32 0, v101
	s_cbranch_execz .LBB2_522
; %bb.521:                              ;   in Loop: Header=BB2_495 Depth=2
	ds_load_b64 v[10:11], v0 offset:872
	s_wait_dscnt 0x0
	v_add_nc_u64_e32 v[10:11], 1, v[10:11]
	ds_store_b64 v0, v[10:11] offset:872
.LBB2_522:                              ;   in Loop: Header=BB2_495 Depth=2
	s_or_b32 exec_lo, exec_lo, s13
	v_mov_b64_e32 v[86:87], v[8:9]
.LBB2_523:                              ;   in Loop: Header=BB2_495 Depth=2
	s_or_b32 exec_lo, exec_lo, s14
	s_and_saveexec_b32 s13, s2
	s_cbranch_execz .LBB2_542
; %bb.524:                              ;   in Loop: Header=BB2_495 Depth=2
	s_and_saveexec_b32 s14, s3
	s_delay_alu instid0(SALU_CYCLE_1)
	s_xor_b32 s14, exec_lo, s14
	s_cbranch_execz .LBB2_539
; %bb.525:                              ;   in Loop: Header=BB2_495 Depth=2
	s_and_saveexec_b32 s15, s6
	s_cbranch_execz .LBB2_538
; %bb.526:                              ;   in Loop: Header=BB2_495 Depth=2
	s_mov_b32 s17, exec_lo
	s_mov_b32 s16, exec_lo
	v_mbcnt_lo_u32_b32 v3, s17, 0
	global_wb scope:SCOPE_DEV
	s_wait_storecnt 0x0
	s_wait_loadcnt_dscnt 0x0
	global_inv scope:SCOPE_DEV
	v_cmpx_eq_u32_e32 0, v3
	s_cbranch_execz .LBB2_528
; %bb.527:                              ;   in Loop: Header=BB2_495 Depth=2
	s_bcnt1_i32_b32 s17, s17
	s_delay_alu instid0(SALU_CYCLE_1)
	v_dual_mov_b32 v9, v2 :: v_dual_mov_b32 v8, s17
	s_wait_loadcnt 0x0
	ds_add_u64 v0, v[8:9]
	s_trap 2
.LBB2_528:                              ;   in Loop: Header=BB2_495 Depth=2
	s_or_b32 exec_lo, exec_lo, s16
	s_trap 2
	ds_load_b64 v[8:9], v0
	s_wait_dscnt 0x0
	v_add_nc_u64_e32 v[12:13], v[12:13], v[32:33]
	s_mov_b32 s16, exec_lo
	s_delay_alu instid0(VALU_DEP_1)
	v_cmpx_lt_u64_e64 v[8:9], v[12:13]
	s_cbranch_execz .LBB2_537
; %bb.529:                              ;   in Loop: Header=BB2_495 Depth=2
	s_mov_b32 s17, 0
	s_mov_b32 s72, 0
                                        ; implicit-def: $sgpr20
                                        ; implicit-def: $sgpr63
	s_branch .LBB2_531
.LBB2_530:                              ;   in Loop: Header=BB2_531 Depth=3
	s_or_b32 exec_lo, exec_lo, s74
	s_delay_alu instid0(SALU_CYCLE_1) | instskip(NEXT) | instid1(SALU_CYCLE_1)
	s_and_b32 s73, exec_lo, s75
	s_or_b32 s17, s73, s17
	s_and_not1_b32 s20, s20, exec_lo
	s_and_b32 s73, s63, exec_lo
	s_delay_alu instid0(SALU_CYCLE_1)
	s_or_b32 s20, s20, s73
	s_and_not1_b32 exec_lo, exec_lo, s17
	s_cbranch_execz .LBB2_535
.LBB2_531:                              ;   Parent Loop BB2_47 Depth=1
                                        ;     Parent Loop BB2_495 Depth=2
                                        ; =>    This Inner Loop Header: Depth=3
	s_add_co_i32 s72, s72, 1
	s_delay_alu instid0(SALU_CYCLE_1) | instskip(SKIP_1) | instid1(SALU_CYCLE_1)
	s_cmp_lg_u32 s72, 0x2710
	s_cselect_b32 s73, -1, 0
	s_and_b32 vcc_lo, exec_lo, s73
	s_cbranch_vccz .LBB2_533
; %bb.532:                              ;   in Loop: Header=BB2_531 Depth=3
	s_mov_b32 s75, -1
	s_or_b32 s63, s63, exec_lo
	s_and_saveexec_b32 s74, s73
	s_cbranch_execz .LBB2_530
	s_branch .LBB2_534
.LBB2_533:                              ;   in Loop: Header=BB2_531 Depth=3
	s_trap 2
	ds_load_b64 v[8:9], v0
	s_and_not1_b32 s73, s73, exec_lo
	s_mov_b32 s72, 0
	s_wait_loadcnt_dscnt 0x0
	flat_load_b32 v3, v[8:9] scope:SCOPE_SYS
	s_wait_loadcnt_dscnt 0x0
	global_inv scope:SCOPE_SYS
	v_cmp_eq_u32_e32 vcc_lo, 0, v3
	s_and_b32 s74, vcc_lo, exec_lo
	s_delay_alu instid0(SALU_CYCLE_1)
	s_or_b32 s73, s73, s74
	s_mov_b32 s75, -1
	s_or_b32 s63, s63, exec_lo
	s_and_saveexec_b32 s74, s73
	s_cbranch_execz .LBB2_530
.LBB2_534:                              ;   in Loop: Header=BB2_531 Depth=3
	s_sleep 1
	s_trap 2
	ds_load_b64 v[8:9], v0
	s_wait_dscnt 0x0
	s_and_not1_b32 s63, s63, exec_lo
	v_cmp_ge_u64_e32 vcc_lo, v[8:9], v[12:13]
	s_or_not1_b32 s75, vcc_lo, exec_lo
	s_branch .LBB2_530
.LBB2_535:                              ;   in Loop: Header=BB2_495 Depth=2
	s_or_b32 exec_lo, exec_lo, s17
	s_and_saveexec_b32 s17, s20
	s_delay_alu instid0(SALU_CYCLE_1)
	s_xor_b32 s17, exec_lo, s17
	s_cbranch_execz .LBB2_537
; %bb.536:                              ;   in Loop: Header=BB2_495 Depth=2
	ds_store_b32 v0, v59
	s_trap 2
.LBB2_537:                              ;   in Loop: Header=BB2_495 Depth=2
	s_or_b32 exec_lo, exec_lo, s16
	;;#ASMSTART
	s_wakeup
	;;#ASMEND
.LBB2_538:                              ;   in Loop: Header=BB2_495 Depth=2
	s_or_b32 exec_lo, exec_lo, s15
.LBB2_539:                              ;   in Loop: Header=BB2_495 Depth=2
	s_and_not1_saveexec_b32 s14, s14
	s_cbranch_execz .LBB2_541
; %bb.540:                              ;   in Loop: Header=BB2_495 Depth=2
	global_wb scope:SCOPE_DEV
	s_wait_storecnt 0x0
	s_wait_loadcnt_dscnt 0x0
	global_inv scope:SCOPE_DEV
	s_barrier_signal -1
	s_barrier_wait -1
.LBB2_541:                              ;   in Loop: Header=BB2_495 Depth=2
	s_or_b32 exec_lo, exec_lo, s14
.LBB2_542:                              ;   in Loop: Header=BB2_495 Depth=2
	s_delay_alu instid0(SALU_CYCLE_1) | instskip(SKIP_4) | instid1(VALU_DEP_1)
	s_or_b32 exec_lo, exec_lo, s13
	s_trap 2
	ds_load_b32 v3, v0
	v_and_b32_e32 v8, 0x4000, v30
	s_xor_b32 s13, s1, -1
	v_cmp_ne_u32_e32 vcc_lo, 0, v8
	s_and_b32 s14, s13, vcc_lo
	s_delay_alu instid0(SALU_CYCLE_1)
	s_and_saveexec_b32 s13, s14
	s_cbranch_execz .LBB2_561
; %bb.543:                              ;   in Loop: Header=BB2_495 Depth=2
	s_and_saveexec_b32 s14, s3
	s_delay_alu instid0(SALU_CYCLE_1)
	s_xor_b32 s14, exec_lo, s14
	s_cbranch_execz .LBB2_558
; %bb.544:                              ;   in Loop: Header=BB2_495 Depth=2
	s_and_saveexec_b32 s15, s6
	s_cbranch_execz .LBB2_557
; %bb.545:                              ;   in Loop: Header=BB2_495 Depth=2
	s_mov_b32 s17, exec_lo
	s_mov_b32 s16, exec_lo
	v_mbcnt_lo_u32_b32 v8, s17, 0
	global_wb scope:SCOPE_DEV
	s_wait_storecnt 0x0
	s_wait_loadcnt_dscnt 0x0
	global_inv scope:SCOPE_DEV
	v_cmpx_eq_u32_e32 0, v8
	s_cbranch_execz .LBB2_547
; %bb.546:                              ;   in Loop: Header=BB2_495 Depth=2
	s_bcnt1_i32_b32 s17, s17
	s_delay_alu instid0(SALU_CYCLE_1)
	v_dual_mov_b32 v9, v2 :: v_dual_mov_b32 v8, s17
	s_wait_loadcnt 0x0
	ds_add_u64 v0, v[8:9]
	s_trap 2
.LBB2_547:                              ;   in Loop: Header=BB2_495 Depth=2
	s_or_b32 exec_lo, exec_lo, s16
	s_trap 2
	ds_load_b64 v[8:9], v0
	s_wait_dscnt 0x0
	v_add_nc_u64_e32 v[12:13], v[12:13], v[32:33]
	s_mov_b32 s16, exec_lo
	s_delay_alu instid0(VALU_DEP_1)
	v_cmpx_lt_u64_e64 v[8:9], v[12:13]
	s_cbranch_execz .LBB2_556
; %bb.548:                              ;   in Loop: Header=BB2_495 Depth=2
	s_mov_b32 s17, 0
	s_mov_b32 s72, 0
                                        ; implicit-def: $sgpr20
                                        ; implicit-def: $sgpr63
	s_branch .LBB2_550
.LBB2_549:                              ;   in Loop: Header=BB2_550 Depth=3
	s_or_b32 exec_lo, exec_lo, s74
	s_delay_alu instid0(SALU_CYCLE_1) | instskip(NEXT) | instid1(SALU_CYCLE_1)
	s_and_b32 s73, exec_lo, s75
	s_or_b32 s17, s73, s17
	s_and_not1_b32 s20, s20, exec_lo
	s_and_b32 s73, s63, exec_lo
	s_delay_alu instid0(SALU_CYCLE_1)
	s_or_b32 s20, s20, s73
	s_and_not1_b32 exec_lo, exec_lo, s17
	s_cbranch_execz .LBB2_554
.LBB2_550:                              ;   Parent Loop BB2_47 Depth=1
                                        ;     Parent Loop BB2_495 Depth=2
                                        ; =>    This Inner Loop Header: Depth=3
	s_add_co_i32 s72, s72, 1
	s_delay_alu instid0(SALU_CYCLE_1) | instskip(SKIP_1) | instid1(SALU_CYCLE_1)
	s_cmp_lg_u32 s72, 0x2710
	s_cselect_b32 s73, -1, 0
	s_and_b32 vcc_lo, exec_lo, s73
	s_cbranch_vccz .LBB2_552
; %bb.551:                              ;   in Loop: Header=BB2_550 Depth=3
	s_mov_b32 s75, -1
	s_or_b32 s63, s63, exec_lo
	s_and_saveexec_b32 s74, s73
	s_cbranch_execz .LBB2_549
	s_branch .LBB2_553
.LBB2_552:                              ;   in Loop: Header=BB2_550 Depth=3
	s_trap 2
	ds_load_b64 v[8:9], v0
	s_and_not1_b32 s73, s73, exec_lo
	s_mov_b32 s72, 0
	s_wait_loadcnt_dscnt 0x0
	flat_load_b32 v8, v[8:9] scope:SCOPE_SYS
	s_wait_loadcnt_dscnt 0x0
	global_inv scope:SCOPE_SYS
	v_cmp_eq_u32_e32 vcc_lo, 0, v8
	s_and_b32 s74, vcc_lo, exec_lo
	s_delay_alu instid0(SALU_CYCLE_1)
	s_or_b32 s73, s73, s74
	s_mov_b32 s75, -1
	s_or_b32 s63, s63, exec_lo
	s_and_saveexec_b32 s74, s73
	s_cbranch_execz .LBB2_549
.LBB2_553:                              ;   in Loop: Header=BB2_550 Depth=3
	s_sleep 1
	s_trap 2
	ds_load_b64 v[8:9], v0
	s_wait_dscnt 0x0
	s_and_not1_b32 s63, s63, exec_lo
	v_cmp_ge_u64_e32 vcc_lo, v[8:9], v[12:13]
	s_or_not1_b32 s75, vcc_lo, exec_lo
	s_branch .LBB2_549
.LBB2_554:                              ;   in Loop: Header=BB2_495 Depth=2
	s_or_b32 exec_lo, exec_lo, s17
	s_and_saveexec_b32 s17, s20
	s_delay_alu instid0(SALU_CYCLE_1)
	s_xor_b32 s17, exec_lo, s17
	s_cbranch_execz .LBB2_556
; %bb.555:                              ;   in Loop: Header=BB2_495 Depth=2
	ds_store_b32 v0, v59
	s_trap 2
.LBB2_556:                              ;   in Loop: Header=BB2_495 Depth=2
	s_or_b32 exec_lo, exec_lo, s16
	;;#ASMSTART
	s_wakeup
	;;#ASMEND
.LBB2_557:                              ;   in Loop: Header=BB2_495 Depth=2
	s_or_b32 exec_lo, exec_lo, s15
.LBB2_558:                              ;   in Loop: Header=BB2_495 Depth=2
	s_and_not1_saveexec_b32 s14, s14
	s_cbranch_execz .LBB2_560
; %bb.559:                              ;   in Loop: Header=BB2_495 Depth=2
	global_wb scope:SCOPE_DEV
	s_wait_storecnt 0x0
	s_wait_loadcnt_dscnt 0x0
	global_inv scope:SCOPE_DEV
	s_barrier_signal -1
	s_barrier_wait -1
.LBB2_560:                              ;   in Loop: Header=BB2_495 Depth=2
	s_or_b32 exec_lo, exec_lo, s14
.LBB2_561:                              ;   in Loop: Header=BB2_495 Depth=2
	s_delay_alu instid0(SALU_CYCLE_1)
	s_or_b32 exec_lo, exec_lo, s13
	s_trap 2
	ds_load_b64 v[116:117], v0
	s_wait_dscnt 0x0
	v_cmp_eq_u64_e32 vcc_lo, 0, v[116:117]
	s_cbranch_vccnz .LBB2_585
; %bb.562:                              ;   in Loop: Header=BB2_495 Depth=2
	s_trap 2
	ds_load_b64 v[114:115], v0
	s_wait_dscnt 0x0
	v_cmp_eq_u64_e32 vcc_lo, 0, v[114:115]
	s_cbranch_vccnz .LBB2_585
; %bb.563:                              ;   in Loop: Header=BB2_495 Depth=2
	s_trap 2
	ds_load_b64 v[118:119], v0
	v_cmp_eq_u32_e32 vcc_lo, 0, v3
	s_mov_b32 s13, -1
	v_cndmask_b32_e32 v101, 0, v100, vcc_lo
	s_delay_alu instid0(VALU_DEP_1)
	v_lshlrev_b32_e32 v103, 2, v101
	s_wait_dscnt 0x0
	v_cmp_ne_u64_e32 vcc_lo, 0, v[118:119]
	s_cbranch_vccz .LBB2_599
; %bb.564:                              ;   in Loop: Header=BB2_495 Depth=2
	s_and_saveexec_b32 s14, s11
	s_cbranch_execz .LBB2_566
; %bb.565:                              ;   in Loop: Header=BB2_495 Depth=2
	ds_load_b32 v3, v0 offset:720
	s_wait_dscnt 0x0
	v_and_b32_e32 v3, 15, v3
	s_delay_alu instid0(VALU_DEP_1)
	v_cmp_eq_u32_e32 vcc_lo, 0, v3
	s_or_not1_b32 s13, vcc_lo, exec_lo
.LBB2_566:                              ;   in Loop: Header=BB2_495 Depth=2
	s_or_b32 exec_lo, exec_lo, s14
	s_and_saveexec_b32 s14, s11
	s_cbranch_execz .LBB2_568
; %bb.567:                              ;   in Loop: Header=BB2_495 Depth=2
	ds_load_b32 v3, v0 offset:784
	s_wait_dscnt 0x0
	v_and_b32_e32 v3, 15, v3
	s_delay_alu instid0(VALU_DEP_1) | instskip(SKIP_3) | instid1(SALU_CYCLE_1)
	v_cmp_eq_u32_e32 vcc_lo, 0, v3
	s_and_b32 s15, s13, vcc_lo
	s_and_not1_b32 s13, s13, exec_lo
	s_and_b32 s15, s15, exec_lo
	s_or_b32 s13, s13, s15
.LBB2_568:                              ;   in Loop: Header=BB2_495 Depth=2
	s_or_b32 exec_lo, exec_lo, s14
	s_xor_b32 s13, s13, -1
	s_delay_alu instid0(SALU_CYCLE_1) | instskip(SKIP_1) | instid1(VALU_DEP_1)
	v_cndmask_b32_e64 v3, 0, 1, s13
	s_mov_b32 s13, -1
	v_cmp_ne_u32_e32 vcc_lo, 0, v3
	s_cbranch_vccz .LBB2_586
; %bb.569:                              ;   in Loop: Header=BB2_495 Depth=2
	v_alignbit_b32 v63, v118, v118, 1
	s_mov_b32 s72, -1
	s_delay_alu instid0(VALU_DEP_1)
	v_readfirstlane_b32 s14, v63
	s_and_b32 s63, s14, 0x7fffffff
	v_mov_b32_e32 v3, 0
	s_cbranch_execnz .LBB2_587
.LBB2_570:                              ;   in Loop: Header=BB2_495 Depth=2
	v_ashrrev_i32_e32 v3, 31, v103
	v_alignbit_b32 v63, v118, v118, 1
	s_mov_b32 s73, exec_lo
	s_delay_alu instid0(VALU_DEP_2) | instskip(NEXT) | instid1(VALU_DEP_2)
	v_dual_sub_nc_u32 v73, v103, v36 :: v_dual_lshrrev_b32 v3, 23, v3
	v_readfirstlane_b32 s14, v63
	s_delay_alu instid0(VALU_DEP_2) | instskip(SKIP_1) | instid1(VALU_DEP_1)
	v_add_nc_u32_e32 v3, v103, v3
	s_and_b32 s63, s14, 0x7fffffff
	v_and_b32_e32 v72, 0xfffffe00, v3
	s_delay_alu instid0(VALU_DEP_1) | instskip(NEXT) | instid1(VALU_DEP_1)
	v_dual_ashrrev_i32 v3, 9, v3 :: v_dual_sub_nc_u32 v74, v103, v72
	v_sub_nc_u32_e32 v3, v3, v58
	s_delay_alu instid0(VALU_DEP_2) | instskip(NEXT) | instid1(VALU_DEP_1)
	v_cmp_lt_i32_e64 s13, 15, v74
	v_add_co_ci_u32_e64 v75, null, 0, v3, s13
	v_cmpx_lt_i32_e32 15, v73
	s_cbranch_execz .LBB2_576
; %bb.571:                              ;   in Loop: Header=BB2_495 Depth=2
	s_cvt_f32_u32 s14, s63
	s_trap 2
	ds_load_b64 v[8:9], v0
	s_sub_co_i32 s15, 0, s63
	v_rcp_iflag_f32_e32 v3, s14
	v_add_nc_u64_e32 v[40:41], v[116:117], v[36:37]
	v_add_nc_u64_e32 v[42:43], v[114:115], v[36:37]
	;; [unrolled: 1-line block ×3, first 2 shown]
	s_mov_b32 s74, 0
	s_delay_alu instid0(TRANS32_DEP_1) | instskip(SKIP_1) | instid1(SALU_CYCLE_3)
	v_readfirstlane_b32 s14, v3
	s_mul_f32 s14, s14, 0x4f7ffffe
	s_cvt_u32_f32 s14, s14
	s_wait_dscnt 0x0
	v_add_nc_u64_e32 v[44:45], v[8:9], v[36:37]
	s_delay_alu instid0(SALU_CYCLE_1) | instskip(NEXT) | instid1(SALU_CYCLE_1)
	s_mul_i32 s15, s15, s14
	s_mul_hi_u32 s15, s14, s15
	s_delay_alu instid0(SALU_CYCLE_1) | instskip(NEXT) | instid1(SALU_CYCLE_1)
	s_add_co_i32 s14, s14, s15
	s_mul_hi_u32 s14, s14, -1
	s_delay_alu instid0(SALU_CYCLE_1) | instskip(SKIP_2) | instid1(SALU_CYCLE_1)
	s_mul_i32 s15, s14, s63
	s_add_co_i32 s16, s14, 1
	s_not_b32 s15, s15
	s_sub_co_i32 s17, s15, s63
	s_cmp_ge_u32 s15, s63
	s_cselect_b32 s14, s16, s14
	s_cselect_b32 s15, s17, s15
	s_add_co_i32 s16, s14, 1
	s_cmp_ge_u32 s15, s63
	s_cselect_b32 s20, s16, s14
.LBB2_572:                              ;   Parent Loop BB2_47 Depth=1
                                        ;     Parent Loop BB2_495 Depth=2
                                        ; =>    This Loop Header: Depth=3
                                        ;         Child Loop BB2_573 Depth 4
	global_load_b128 v[8:11], v[44:45], off th:TH_LOAD_NT
	global_load_b128 v[76:79], v[40:41], off th:TH_LOAD_NT
	v_dual_mov_b32 v88, v2 :: v_dual_mov_b32 v91, v2
	v_dual_mov_b32 v93, v2 :: v_dual_mov_b32 v95, v2
	s_mov_b32 s75, -1
	s_wait_loadcnt 0x0
	v_dual_mov_b32 v3, v9 :: v_dual_add_nc_u32 v8, v8, v76
	v_dual_mov_b32 v9, v2 :: v_dual_mov_b32 v89, v11
	v_add_nc_u32_e32 v92, v10, v78
	s_delay_alu instid0(VALU_DEP_3) | instskip(NEXT) | instid1(VALU_DEP_4)
	v_add_nc_u64_e32 v[10:11], v[2:3], v[76:77]
	v_dual_sub_nc_u32 v10, 0, v8 :: v_dual_bitop2_b32 v3, v63, v8 bitop3:0x40
	s_delay_alu instid0(VALU_DEP_4) | instskip(NEXT) | instid1(VALU_DEP_4)
	v_add_nc_u64_e32 v[76:77], v[88:89], v[78:79]
	v_dual_sub_nc_u32 v104, 0, v92 :: v_dual_bitop2_b32 v94, v63, v92 bitop3:0x40
	s_delay_alu instid0(VALU_DEP_3) | instskip(SKIP_1) | instid1(VALU_DEP_3)
	v_cmp_lt_i32_e32 vcc_lo, -1, v3
	v_and_b32_e32 v3, v63, v11
	v_cmp_lt_i32_e64 s14, -1, v94
	v_dual_cndmask_b32 v90, v10, v8, vcc_lo :: v_dual_sub_nc_u32 v8, 0, v11
	s_delay_alu instid0(VALU_DEP_2) | instskip(NEXT) | instid1(VALU_DEP_4)
	v_dual_cndmask_b32 v94, v104, v92, s14 :: v_dual_bitop2_b32 v10, v63, v77 bitop3:0x40
	v_cmp_lt_i32_e64 s15, -1, v3
	s_delay_alu instid0(VALU_DEP_3) | instskip(SKIP_1) | instid1(VALU_DEP_4)
	v_mul_u64_e32 v[78:79], s[20:21], v[90:91]
	v_sub_nc_u32_e32 v76, 0, v77
	v_cmp_lt_i32_e64 s16, -1, v10
	v_mul_u64_e32 v[88:89], s[20:21], v[94:95]
	v_cndmask_b32_e64 v92, v8, v11, s15
	s_delay_alu instid0(VALU_DEP_1) | instskip(SKIP_2) | instid1(VALU_DEP_3)
	v_mul_u64_e32 v[10:11], s[20:21], v[92:93]
	v_mul_lo_u32 v3, s63, v79
	v_cndmask_b32_e64 v8, v76, v77, s16
	v_mul_lo_u32 v10, s63, v11
	s_delay_alu instid0(VALU_DEP_3) | instskip(NEXT) | instid1(VALU_DEP_3)
	v_sub_nc_u32_e32 v3, v90, v3
	v_mul_u64_e32 v[76:77], s[20:21], v[8:9]
	v_mul_lo_u32 v9, s63, v89
	s_delay_alu instid0(VALU_DEP_3) | instskip(SKIP_1) | instid1(VALU_DEP_2)
	v_cmp_le_u32_e64 s17, s63, v3
	v_sub_nc_u32_e32 v10, v92, v10
	v_add_co_ci_u32_e64 v3, null, 0, v79, s17
	s_delay_alu instid0(VALU_DEP_4) | instskip(NEXT) | instid1(VALU_DEP_1)
	v_sub_nc_u32_e32 v9, v94, v9
	v_cmp_le_u32_e64 s17, s63, v9
	s_delay_alu instid0(VALU_DEP_1) | instskip(SKIP_1) | instid1(VALU_DEP_2)
	v_add_co_ci_u32_e64 v9, null, 0, v89, s17
	v_cmp_le_u32_e64 s17, s63, v10
	v_sub_nc_u32_e32 v10, 0, v9
	s_delay_alu instid0(VALU_DEP_2) | instskip(SKIP_1) | instid1(VALU_DEP_1)
	v_add_co_ci_u32_e64 v11, null, 0, v11, s17
	v_mul_lo_u32 v76, s63, v77
	v_dual_cndmask_b32 v10, v10, v9, s14 :: v_dual_sub_nc_u32 v8, v8, v76
	s_delay_alu instid0(VALU_DEP_1) | instskip(NEXT) | instid1(VALU_DEP_1)
	v_cmp_le_u32_e64 s17, s63, v8
	v_add_co_ci_u32_e64 v76, null, 0, v77, s17
	v_sub_nc_u32_e32 v8, 0, v3
	s_delay_alu instid0(VALU_DEP_2) | instskip(NEXT) | instid1(VALU_DEP_2)
	v_dual_sub_nc_u32 v77, 0, v11 :: v_dual_sub_nc_u32 v78, 0, v76
	v_cndmask_b32_e32 v8, v8, v3, vcc_lo
	s_delay_alu instid0(VALU_DEP_2)
	v_dual_cndmask_b32 v9, v77, v11, s15 :: v_dual_cndmask_b32 v11, v78, v76, s16
	s_mov_b64 s[16:17], 0
.LBB2_573:                              ;   Parent Loop BB2_47 Depth=1
                                        ;     Parent Loop BB2_495 Depth=2
                                        ;       Parent Loop BB2_572 Depth=3
                                        ; =>      This Inner Loop Header: Depth=4
	s_delay_alu instid0(SALU_CYCLE_1)
	s_cmp_eq_u32 s16, 1
	s_cselect_b32 vcc_lo, -1, 0
	s_cmp_eq_u32 s16, 0
	s_wait_xcnt 0x0
	v_dual_cndmask_b32 v77, v43, v47 :: v_dual_cndmask_b32 v76, v42, v46
	s_cselect_b32 s14, -1, 0
	s_and_b32 s15, exec_lo, s75
	s_mov_b64 s[16:17], 1
	s_mov_b32 s75, 0
	v_add_nc_u64_e32 v[78:79], 0x200, v[76:77]
	global_store_b128 v[76:77], v[8:11], off th:TH_STORE_NT
	v_dual_cndmask_b32 v47, v47, v79 :: v_dual_cndmask_b32 v46, v46, v78
	v_dual_cndmask_b32 v43, v43, v79, s14 :: v_dual_cndmask_b32 v42, v42, v78, s14
	s_mov_b32 vcc_lo, s15
	s_cbranch_vccnz .LBB2_573
; %bb.574:                              ;   in Loop: Header=BB2_572 Depth=3
	v_dual_sub_nc_u32 v73, v73, v50 :: v_dual_sub_nc_u32 v75, v75, v32
	s_wait_xcnt 0x1
	v_add_nc_u64_e32 v[40:41], v[40:41], v[80:81]
	v_add_nc_u64_e32 v[44:45], v[44:45], v[80:81]
	;; [unrolled: 1-line block ×3, first 2 shown]
	v_cmp_gt_i32_e32 vcc_lo, 16, v73
	v_add_nc_u64_e32 v[46:47], v[46:47], v[68:69]
	s_or_b32 s74, vcc_lo, s74
	s_wait_xcnt 0x0
	s_and_not1_b32 exec_lo, exec_lo, s74
	s_cbranch_execnz .LBB2_572
; %bb.575:                              ;   in Loop: Header=BB2_495 Depth=2
	s_or_b32 exec_lo, exec_lo, s74
.LBB2_576:                              ;   in Loop: Header=BB2_495 Depth=2
	s_delay_alu instid0(SALU_CYCLE_1) | instskip(SKIP_2) | instid1(VALU_DEP_1)
	s_or_b32 exec_lo, exec_lo, s73
	v_and_b32_e32 v8, 12, v103
	s_mov_b32 s73, exec_lo
                                        ; implicit-def: $vgpr44
                                        ; implicit-def: $vgpr3
                                        ; implicit-def: $vgpr45
	v_cndmask_b32_e64 v73, v74, v8, s13
	s_delay_alu instid0(VALU_DEP_1)
	v_cmpx_ne_u32_e32 0, v73
	s_cbranch_execz .LBB2_584
; %bb.577:                              ;   in Loop: Header=BB2_495 Depth=2
	v_cmp_lt_i32_e32 vcc_lo, 0, v75
	s_mov_b32 s74, exec_lo
	v_dual_ashrrev_i32 v10, 31, v73 :: v_dual_sub_nc_u32 v8, v74, v8
	s_delay_alu instid0(VALU_DEP_1) | instskip(NEXT) | instid1(VALU_DEP_1)
	v_dual_cndmask_b32 v3, 0, v32 :: v_dual_lshrrev_b32 v10, 23, v10
	v_dual_sub_nc_u32 v3, v3, v75 :: v_dual_add_nc_u32 v10, v73, v10
	s_delay_alu instid0(VALU_DEP_1) | instskip(NEXT) | instid1(VALU_DEP_2)
	v_lshl_or_b32 v3, v3, 5, v57
	v_and_b32_e32 v76, 0xfffffe00, v10
	s_delay_alu instid0(VALU_DEP_2) | instskip(NEXT) | instid1(VALU_DEP_1)
	v_dual_ashrrev_i32 v10, 9, v10 :: v_dual_ashrrev_i32 v9, 31, v3
	v_dual_sub_nc_u32 v74, v73, v76 :: v_dual_lshrrev_b32 v9, 27, v9
	s_delay_alu instid0(VALU_DEP_1) | instskip(NEXT) | instid1(VALU_DEP_1)
	v_add_nc_u32_e32 v9, v3, v9
	v_and_b32_e32 v11, 0xffffffe0, v9
	s_delay_alu instid0(VALU_DEP_1) | instskip(NEXT) | instid1(VALU_DEP_1)
	v_dual_ashrrev_i32 v9, 5, v9 :: v_dual_sub_nc_u32 v75, v3, v11
	v_lshlrev_b32_e32 v3, 4, v75
	s_delay_alu instid0(VALU_DEP_1) | instskip(SKIP_2) | instid1(VALU_DEP_3)
	v_lshl_add_u32 v3, v9, 9, v3
	v_cndmask_b32_e64 v8, 0, v8, s13
	v_cmp_lt_i32_e64 s13, 15, v74
	v_sub_nc_u32_e32 v78, v73, v3
	s_delay_alu instid0(VALU_DEP_2) | instskip(NEXT) | instid1(VALU_DEP_1)
	v_add_co_ci_u32_e64 v10, null, 0, v10, s13
	v_dual_add_nc_u32 v72, v8, v72 :: v_dual_sub_nc_u32 v77, v10, v9
	s_delay_alu instid0(VALU_DEP_3)
	v_cmpx_lt_i32_e32 15, v78
	s_cbranch_execz .LBB2_583
; %bb.578:                              ;   in Loop: Header=BB2_495 Depth=2
	s_cvt_f32_u32 s14, s63
	s_trap 2
	s_sub_co_i32 s15, 0, s63
	v_add_nc_u32_e32 v10, v3, v72
	v_rcp_iflag_f32_e32 v8, s14
	s_mov_b32 s75, 0
	s_delay_alu instid0(VALU_DEP_1) | instskip(NEXT) | instid1(TRANS32_DEP_1)
	v_ashrrev_i32_e32 v11, 31, v10
	v_readfirstlane_b32 s14, v8
	ds_load_b64 v[8:9], v0
	v_add_nc_u64_e32 v[40:41], v[10:11], v[116:117]
	v_add_nc_u64_e32 v[42:43], v[10:11], v[114:115]
	v_add_nc_u64_e32 v[46:47], v[10:11], v[118:119]
	s_mul_f32 s14, s14, 0x4f7ffffe
	s_delay_alu instid0(SALU_CYCLE_3) | instskip(NEXT) | instid1(SALU_CYCLE_3)
	s_cvt_u32_f32 s14, s14
	s_mul_i32 s15, s15, s14
	s_delay_alu instid0(SALU_CYCLE_1) | instskip(NEXT) | instid1(SALU_CYCLE_1)
	s_mul_hi_u32 s15, s14, s15
	s_add_co_i32 s14, s14, s15
	s_delay_alu instid0(SALU_CYCLE_1)
	s_mul_hi_u32 s14, s14, -1
	s_wait_dscnt 0x0
	v_add_nc_u64_e32 v[44:45], v[8:9], v[10:11]
	s_mul_i32 s15, s14, s63
	s_add_co_i32 s16, s14, 1
	s_not_b32 s15, s15
	s_delay_alu instid0(SALU_CYCLE_1)
	s_sub_co_i32 s17, s15, s63
	s_cmp_ge_u32 s15, s63
	s_cselect_b32 s14, s16, s14
	s_cselect_b32 s15, s17, s15
	s_add_co_i32 s16, s14, 1
	s_cmp_ge_u32 s15, s63
	s_cselect_b32 s20, s16, s14
.LBB2_579:                              ;   Parent Loop BB2_47 Depth=1
                                        ;     Parent Loop BB2_495 Depth=2
                                        ; =>    This Loop Header: Depth=3
                                        ;         Child Loop BB2_580 Depth 4
	global_load_b128 v[8:11], v[44:45], off th:TH_LOAD_NT
	global_load_b128 v[88:91], v[40:41], off th:TH_LOAD_NT
	v_dual_mov_b32 v92, v2 :: v_dual_mov_b32 v95, v2
	v_dual_mov_b32 v105, v2 :: v_dual_mov_b32 v107, v2
	s_mov_b32 s76, -1
	s_wait_loadcnt 0x0
	v_dual_mov_b32 v3, v9 :: v_dual_add_nc_u32 v8, v8, v88
	v_dual_mov_b32 v9, v2 :: v_dual_mov_b32 v93, v11
	v_add_nc_u32_e32 v79, v10, v90
	s_delay_alu instid0(VALU_DEP_3) | instskip(NEXT) | instid1(VALU_DEP_4)
	v_add_nc_u64_e32 v[10:11], v[2:3], v[88:89]
	v_dual_sub_nc_u32 v10, 0, v8 :: v_dual_bitop2_b32 v3, v63, v8 bitop3:0x40
	s_delay_alu instid0(VALU_DEP_4) | instskip(NEXT) | instid1(VALU_DEP_4)
	v_add_nc_u64_e32 v[88:89], v[92:93], v[90:91]
	v_and_b32_e32 v104, v63, v79
	s_delay_alu instid0(VALU_DEP_3) | instskip(SKIP_2) | instid1(VALU_DEP_4)
	v_cmp_lt_i32_e32 vcc_lo, -1, v3
	v_sub_nc_u32_e32 v106, 0, v79
	v_and_b32_e32 v3, v63, v11
	v_cmp_lt_i32_e64 s14, -1, v104
	v_dual_cndmask_b32 v94, v10, v8, vcc_lo :: v_dual_sub_nc_u32 v8, 0, v11
	s_delay_alu instid0(VALU_DEP_2) | instskip(NEXT) | instid1(VALU_DEP_4)
	v_dual_cndmask_b32 v106, v106, v79, s14 :: v_dual_bitop2_b32 v10, v63, v89 bitop3:0x40
	v_cmp_lt_i32_e64 s15, -1, v3
	s_delay_alu instid0(VALU_DEP_3) | instskip(SKIP_1) | instid1(VALU_DEP_4)
	v_mul_u64_e32 v[90:91], s[20:21], v[94:95]
	v_sub_nc_u32_e32 v79, 0, v89
	v_cmp_lt_i32_e64 s16, -1, v10
	v_mul_u64_e32 v[92:93], s[20:21], v[106:107]
	v_cndmask_b32_e64 v104, v8, v11, s15
	s_delay_alu instid0(VALU_DEP_1) | instskip(SKIP_2) | instid1(VALU_DEP_3)
	v_mul_u64_e32 v[10:11], s[20:21], v[104:105]
	v_mul_lo_u32 v3, s63, v91
	v_cndmask_b32_e64 v8, v79, v89, s16
	v_mul_lo_u32 v10, s63, v11
	s_delay_alu instid0(VALU_DEP_3) | instskip(NEXT) | instid1(VALU_DEP_3)
	v_sub_nc_u32_e32 v3, v94, v3
	v_mul_u64_e32 v[88:89], s[20:21], v[8:9]
	v_mul_lo_u32 v9, s63, v93
	s_delay_alu instid0(VALU_DEP_3) | instskip(SKIP_1) | instid1(VALU_DEP_2)
	v_cmp_le_u32_e64 s17, s63, v3
	v_sub_nc_u32_e32 v10, v104, v10
	v_add_co_ci_u32_e64 v3, null, 0, v91, s17
	s_delay_alu instid0(VALU_DEP_4) | instskip(NEXT) | instid1(VALU_DEP_1)
	v_sub_nc_u32_e32 v9, v106, v9
	v_cmp_le_u32_e64 s17, s63, v9
	s_delay_alu instid0(VALU_DEP_1) | instskip(SKIP_1) | instid1(VALU_DEP_2)
	v_add_co_ci_u32_e64 v9, null, 0, v93, s17
	v_cmp_le_u32_e64 s17, s63, v10
	v_sub_nc_u32_e32 v10, 0, v9
	s_delay_alu instid0(VALU_DEP_2) | instskip(SKIP_1) | instid1(VALU_DEP_2)
	v_add_co_ci_u32_e64 v11, null, 0, v11, s17
	v_mul_lo_u32 v79, s63, v89
	v_dual_cndmask_b32 v10, v10, v9, s14 :: v_dual_sub_nc_u32 v88, 0, v11
	s_delay_alu instid0(VALU_DEP_1) | instskip(NEXT) | instid1(VALU_DEP_3)
	v_cndmask_b32_e64 v9, v88, v11, s15
	v_sub_nc_u32_e32 v8, v8, v79
	s_delay_alu instid0(VALU_DEP_1) | instskip(SKIP_1) | instid1(VALU_DEP_2)
	v_cmp_le_u32_e64 s17, s63, v8
	v_sub_nc_u32_e32 v8, 0, v3
	v_add_co_ci_u32_e64 v79, null, 0, v89, s17
	s_delay_alu instid0(VALU_DEP_2) | instskip(NEXT) | instid1(VALU_DEP_2)
	v_cndmask_b32_e32 v8, v8, v3, vcc_lo
	v_sub_nc_u32_e32 v89, 0, v79
	s_delay_alu instid0(VALU_DEP_1)
	v_cndmask_b32_e64 v11, v89, v79, s16
	s_mov_b64 s[16:17], 0
.LBB2_580:                              ;   Parent Loop BB2_47 Depth=1
                                        ;     Parent Loop BB2_495 Depth=2
                                        ;       Parent Loop BB2_579 Depth=3
                                        ; =>      This Inner Loop Header: Depth=4
	s_delay_alu instid0(SALU_CYCLE_1)
	s_cmp_eq_u32 s16, 1
	s_cselect_b32 vcc_lo, -1, 0
	s_cmp_eq_u32 s16, 0
	s_wait_xcnt 0x0
	v_dual_cndmask_b32 v89, v43, v47 :: v_dual_cndmask_b32 v88, v42, v46
	s_cselect_b32 s14, -1, 0
	s_and_b32 s15, exec_lo, s76
	s_mov_b64 s[16:17], 1
	s_mov_b32 s76, 0
	v_add_nc_u64_e32 v[90:91], 0x200, v[88:89]
	global_store_b128 v[88:89], v[8:11], off th:TH_STORE_NT
	v_dual_cndmask_b32 v47, v47, v91 :: v_dual_cndmask_b32 v46, v46, v90
	v_dual_cndmask_b32 v43, v43, v91, s14 :: v_dual_cndmask_b32 v42, v42, v90, s14
	s_mov_b32 vcc_lo, s15
	s_cbranch_vccnz .LBB2_580
; %bb.581:                              ;   in Loop: Header=BB2_579 Depth=3
	v_dual_sub_nc_u32 v78, v78, v50 :: v_dual_sub_nc_u32 v77, v77, v32
	s_wait_xcnt 0x1
	v_add_nc_u64_e32 v[40:41], v[40:41], v[80:81]
	v_add_nc_u64_e32 v[44:45], v[44:45], v[80:81]
	;; [unrolled: 1-line block ×3, first 2 shown]
	v_cmp_gt_i32_e32 vcc_lo, 16, v78
	v_add_nc_u64_e32 v[46:47], v[46:47], v[68:69]
	s_or_b32 s75, vcc_lo, s75
	s_wait_xcnt 0x0
	s_and_not1_b32 exec_lo, exec_lo, s75
	s_cbranch_execnz .LBB2_579
; %bb.582:                              ;   in Loop: Header=BB2_495 Depth=2
	s_or_b32 exec_lo, exec_lo, s75
.LBB2_583:                              ;   in Loop: Header=BB2_495 Depth=2
	s_delay_alu instid0(SALU_CYCLE_1) | instskip(NEXT) | instid1(VALU_DEP_2)
	s_or_b32 exec_lo, exec_lo, s74
	v_cmp_lt_i32_e32 vcc_lo, 0, v77
	v_dual_cndmask_b32 v8, 0, v32, vcc_lo :: v_dual_bitop2_b32 v3, 12, v73 bitop3:0x40
	s_delay_alu instid0(VALU_DEP_1) | instskip(NEXT) | instid1(VALU_DEP_2)
	v_dual_sub_nc_u32 v9, v74, v3 :: v_dual_cndmask_b32 v44, v74, v3, s13
	v_sub_nc_u32_e32 v3, v8, v77
	s_delay_alu instid0(VALU_DEP_2) | instskip(NEXT) | instid1(VALU_DEP_3)
	v_cndmask_b32_e64 v8, 0, v9, s13
	v_cmp_ne_u32_e32 vcc_lo, 0, v44
	s_and_not1_b32 s13, s72, exec_lo
	s_delay_alu instid0(VALU_DEP_3) | instskip(NEXT) | instid1(VALU_DEP_3)
	v_lshl_add_u32 v45, v3, 5, v75
	v_add3_u32 v3, v76, v72, v8
	s_and_b32 s14, vcc_lo, exec_lo
	s_delay_alu instid0(SALU_CYCLE_1)
	s_or_b32 s72, s13, s14
.LBB2_584:                              ;   in Loop: Header=BB2_495 Depth=2
	s_or_b32 exec_lo, exec_lo, s73
	s_and_saveexec_b32 s73, s72
	s_cbranch_execnz .LBB2_588
	s_branch .LBB2_598
.LBB2_585:                              ;   in Loop: Header=BB2_495 Depth=2
	s_mov_b32 s13, 0
	s_and_saveexec_b32 s14, s2
	s_cbranch_execnz .LBB2_629
	s_branch .LBB2_647
.LBB2_586:                              ;   in Loop: Header=BB2_495 Depth=2
	s_mov_b32 s72, 0
                                        ; implicit-def: $vgpr63
                                        ; implicit-def: $sgpr63
	v_mov_b32_e32 v3, 0
	s_and_not1_b32 vcc_lo, exec_lo, s13
	s_cbranch_vccz .LBB2_570
.LBB2_587:                              ;   in Loop: Header=BB2_495 Depth=2
	v_dual_mov_b32 v44, v103 :: v_dual_mov_b32 v45, v0
	s_and_saveexec_b32 s73, s72
	s_cbranch_execz .LBB2_598
.LBB2_588:                              ;   in Loop: Header=BB2_495 Depth=2
	s_delay_alu instid0(VALU_DEP_1) | instskip(SKIP_1) | instid1(VALU_DEP_1)
	v_dual_ashrrev_i32 v8, 31, v45 :: v_dual_ashrrev_i32 v9, 31, v44
	s_mov_b32 s16, exec_lo
	v_dual_lshrrev_b32 v8, 27, v8 :: v_dual_lshrrev_b32 v9, 24, v9
	s_delay_alu instid0(VALU_DEP_1) | instskip(NEXT) | instid1(VALU_DEP_1)
	v_dual_add_nc_u32 v8, v45, v8 :: v_dual_add_nc_u32 v9, v44, v9
	v_dual_ashrrev_i32 v46, 5, v8 :: v_dual_ashrrev_i32 v72, 8, v9
	s_delay_alu instid0(VALU_DEP_1) | instskip(NEXT) | instid1(VALU_DEP_1)
	v_sub_nc_u32_e32 v47, v72, v46
	v_cmpx_lt_i32_e32 0, v47
	s_cbranch_execz .LBB2_592
; %bb.589:                              ;   in Loop: Header=BB2_495 Depth=2
	s_cvt_f32_u32 s13, s63
	v_and_b32_e32 v8, 0x3fffffe0, v8
	s_trap 2
	ds_load_b64 v[10:11], v0
	v_rcp_iflag_f32_e32 v9, s13
	s_sub_co_i32 s14, 0, s63
	v_dual_sub_nc_u32 v8, v45, v8 :: v_dual_lshlrev_b32 v40, 8, v46
	s_delay_alu instid0(VALU_DEP_1) | instskip(NEXT) | instid1(TRANS32_DEP_1)
	v_lshlrev_b32_e32 v8, 2, v8
	v_readfirstlane_b32 s13, v9
	s_delay_alu instid0(VALU_DEP_2) | instskip(SKIP_1) | instid1(SALU_CYCLE_3)
	v_add3_u32 v42, v8, v3, v40
	s_mul_f32 s13, s13, 0x4f7ffffe
	s_cvt_u32_f32 s13, s13
	s_delay_alu instid0(VALU_DEP_1) | instskip(NEXT) | instid1(SALU_CYCLE_2)
	v_ashrrev_i32_e32 v43, 31, v42
	s_mul_i32 s14, s14, s13
	s_delay_alu instid0(SALU_CYCLE_1) | instskip(NEXT) | instid1(VALU_DEP_1)
	s_mul_hi_u32 s14, s13, s14
	v_add_nc_u64_e32 v[8:9], v[42:43], v[116:117]
	s_add_co_i32 s13, s13, s14
	s_wait_dscnt 0x0
	v_add_nc_u64_e32 v[10:11], v[10:11], v[42:43]
	s_mul_hi_u32 s13, s13, -1
	v_add_nc_u64_e32 v[40:41], v[42:43], v[114:115]
	s_mul_i32 s14, s13, s63
	s_add_co_i32 s15, s13, 1
	s_not_b32 s14, s14
	v_add_nc_u64_e32 v[42:43], v[42:43], v[118:119]
	s_sub_co_i32 s17, s14, s63
	s_cmp_ge_u32 s14, s63
	s_cselect_b32 s13, s15, s13
	s_cselect_b32 s14, s17, s14
	s_add_co_i32 s15, s13, 1
	s_cmp_ge_u32 s14, s63
	s_mov_b32 s17, 0
	s_cselect_b32 s20, s15, s13
.LBB2_590:                              ;   Parent Loop BB2_47 Depth=1
                                        ;     Parent Loop BB2_495 Depth=2
                                        ; =>    This Inner Loop Header: Depth=3
	flat_load_b32 v73, v[10:11] th:TH_LOAD_NT
	s_clause 0x1
	flat_load_b32 v74, v[8:9] th:TH_LOAD_NT
	flat_load_b32 v76, v[8:9] offset:128 th:TH_LOAD_NT
	flat_load_b32 v78, v[10:11] offset:128 th:TH_LOAD_NT
	v_dual_mov_b32 v75, v2 :: v_dual_mov_b32 v77, v2
	s_wait_xcnt 0x1
	v_add_nc_u64_e32 v[8:9], v[8:9], v[52:53]
	s_wait_xcnt 0x0
	v_add_nc_u64_e32 v[10:11], v[10:11], v[52:53]
	s_wait_loadcnt_dscnt 0x0
	v_dual_add_nc_u32 v73, v73, v74 :: v_dual_add_nc_u32 v76, v78, v76
	s_delay_alu instid0(VALU_DEP_1) | instskip(NEXT) | instid1(VALU_DEP_2)
	v_dual_sub_nc_u32 v78, 0, v73 :: v_dual_bitop2_b32 v74, v73, v63 bitop3:0x40
	v_dual_sub_nc_u32 v88, 0, v76 :: v_dual_bitop2_b32 v79, v76, v63 bitop3:0x40
	s_delay_alu instid0(VALU_DEP_2) | instskip(NEXT) | instid1(VALU_DEP_2)
	v_cmp_lt_i32_e32 vcc_lo, -1, v74
	v_cmp_lt_i32_e64 s13, -1, v79
	s_delay_alu instid0(VALU_DEP_1) | instskip(NEXT) | instid1(VALU_DEP_1)
	v_dual_cndmask_b32 v74, v78, v73, vcc_lo :: v_dual_cndmask_b32 v76, v88, v76, s13
	v_mul_u64_e32 v[78:79], s[20:21], v[74:75]
	s_delay_alu instid0(VALU_DEP_2) | instskip(NEXT) | instid1(VALU_DEP_2)
	v_mul_u64_e32 v[88:89], s[20:21], v[76:77]
	v_mul_lo_u32 v73, s63, v79
	v_sub_nc_u32_e32 v47, v47, v32
	s_delay_alu instid0(VALU_DEP_3) | instskip(NEXT) | instid1(VALU_DEP_3)
	v_mul_lo_u32 v75, s63, v89
	v_sub_nc_u32_e32 v73, v74, v73
	s_delay_alu instid0(VALU_DEP_3) | instskip(NEXT) | instid1(VALU_DEP_2)
	v_cmp_gt_i32_e64 s14, 1, v47
	v_cmp_le_u32_e64 s15, s63, v73
	s_or_b32 s17, s14, s17
	v_add_co_ci_u32_e64 v73, null, 0, v79, s15
	s_delay_alu instid0(VALU_DEP_1) | instskip(NEXT) | instid1(VALU_DEP_1)
	v_dual_sub_nc_u32 v74, v76, v75 :: v_dual_sub_nc_u32 v75, 0, v73
	v_cmp_le_u32_e64 s15, s63, v74
	s_delay_alu instid0(VALU_DEP_2) | instskip(NEXT) | instid1(VALU_DEP_2)
	v_cndmask_b32_e32 v73, v75, v73, vcc_lo
	v_add_co_ci_u32_e64 v74, null, 0, v89, s15
	s_delay_alu instid0(VALU_DEP_1) | instskip(NEXT) | instid1(VALU_DEP_1)
	v_sub_nc_u32_e32 v76, 0, v74
	v_cndmask_b32_e64 v74, v76, v74, s13
	s_clause 0x1
	flat_store_b32 v[40:41], v73 th:TH_STORE_NT
	flat_store_b32 v[40:41], v74 offset:128 th:TH_STORE_NT
	s_clause 0x1
	flat_store_b32 v[42:43], v73 th:TH_STORE_NT
	flat_store_b32 v[42:43], v74 offset:128 th:TH_STORE_NT
	s_wait_xcnt 0x2
	v_add_nc_u64_e32 v[40:41], v[40:41], v[52:53]
	s_wait_xcnt 0x0
	v_add_nc_u64_e32 v[42:43], v[42:43], v[52:53]
	s_and_not1_b32 exec_lo, exec_lo, s17
	s_cbranch_execnz .LBB2_590
; %bb.591:                              ;   in Loop: Header=BB2_495 Depth=2
	s_or_b32 exec_lo, exec_lo, s17
.LBB2_592:                              ;   in Loop: Header=BB2_495 Depth=2
	s_delay_alu instid0(SALU_CYCLE_1) | instskip(SKIP_1) | instid1(VALU_DEP_1)
	s_or_b32 exec_lo, exec_lo, s16
	v_lshlrev_b32_e32 v8, 8, v72
	v_cmp_ne_u32_e32 vcc_lo, v44, v8
	s_and_b32 exec_lo, exec_lo, vcc_lo
	s_cbranch_execz .LBB2_598
; %bb.593:                              ;   in Loop: Header=BB2_495 Depth=2
	v_dual_lshlrev_b32 v9, 5, v46 :: v_dual_lshlrev_b32 v10, 5, v47
	s_delay_alu instid0(VALU_DEP_1) | instskip(NEXT) | instid1(VALU_DEP_1)
	v_sub_nc_u32_e32 v9, v45, v9
	v_sub_nc_u32_e32 v9, v9, v10
	s_delay_alu instid0(VALU_DEP_1) | instskip(NEXT) | instid1(VALU_DEP_1)
	v_ashrrev_i32_e32 v10, 31, v9
	v_lshrrev_b32_e32 v10, 27, v10
	s_delay_alu instid0(VALU_DEP_1) | instskip(NEXT) | instid1(VALU_DEP_1)
	v_add_nc_u32_e32 v10, v9, v10
	v_and_b32_e32 v11, 0x3fffffe0, v10
	s_delay_alu instid0(VALU_DEP_1) | instskip(NEXT) | instid1(VALU_DEP_1)
	v_dual_lshlrev_b32 v10, 2, v10 :: v_dual_sub_nc_u32 v9, v9, v11
	v_and_b32_e32 v10, 0xffffff80, v10
	s_delay_alu instid0(VALU_DEP_2) | instskip(NEXT) | instid1(VALU_DEP_1)
	v_lshlrev_b32_e32 v9, 2, v9
	v_add3_u32 v8, v10, v9, v8
	s_delay_alu instid0(VALU_DEP_1) | instskip(NEXT) | instid1(VALU_DEP_1)
	v_sub_nc_u32_e32 v44, v44, v8
	v_cmp_lt_i32_e32 vcc_lo, 3, v44
	s_and_b32 exec_lo, exec_lo, vcc_lo
	s_cbranch_execz .LBB2_598
; %bb.594:                              ;   in Loop: Header=BB2_495 Depth=2
	s_cvt_f32_u32 s13, s63
	s_trap 2
	ds_load_b64 v[40:41], v0
	s_sub_co_i32 s14, 0, s63
	v_rcp_iflag_f32_e32 v9, s13
	v_add_nc_u32_e32 v42, v8, v3
	s_delay_alu instid0(VALU_DEP_1) | instskip(NEXT) | instid1(TRANS32_DEP_1)
	v_ashrrev_i32_e32 v43, 31, v42
	v_readfirstlane_b32 s13, v9
	s_delay_alu instid0(VALU_DEP_2) | instskip(SKIP_2) | instid1(SALU_CYCLE_2)
	v_add_nc_u64_e32 v[8:9], v[42:43], v[116:117]
	s_mul_f32 s13, s13, 0x4f7ffffe
	v_add_nc_u64_e32 v[10:11], v[42:43], v[114:115]
	s_cvt_u32_f32 s13, s13
	s_wait_dscnt 0x0
	v_add_nc_u64_e32 v[40:41], v[40:41], v[42:43]
	v_add_nc_u64_e32 v[42:43], v[42:43], v[118:119]
	s_mul_i32 s14, s14, s13
	s_delay_alu instid0(SALU_CYCLE_1) | instskip(NEXT) | instid1(SALU_CYCLE_1)
	s_mul_hi_u32 s14, s13, s14
	s_add_co_i32 s13, s13, s14
	s_delay_alu instid0(SALU_CYCLE_1) | instskip(NEXT) | instid1(SALU_CYCLE_1)
	s_mul_hi_u32 s13, s13, -1
	s_mul_i32 s14, s13, s63
	s_add_co_i32 s15, s13, 1
	s_not_b32 s14, s14
	s_delay_alu instid0(SALU_CYCLE_1)
	s_sub_co_i32 s16, s14, s63
	s_cmp_ge_u32 s14, s63
	s_cselect_b32 s13, s15, s13
	s_cselect_b32 s14, s16, s14
	s_add_co_i32 s16, s13, 1
	s_cmp_ge_u32 s14, s63
	s_mov_b32 s15, 0
	s_cselect_b32 s20, s16, s13
.LBB2_595:                              ;   Parent Loop BB2_47 Depth=1
                                        ;     Parent Loop BB2_495 Depth=2
                                        ; =>    This Loop Header: Depth=3
                                        ;         Child Loop BB2_596 Depth 4
	flat_load_b32 v3, v[8:9] th:TH_LOAD_NT
	flat_load_b32 v119, v[40:41] th:TH_LOAD_NT
	s_mov_b64 s[16:17], 0
	s_mov_b32 s72, -1
	s_wait_loadcnt_dscnt 0x0
	v_dual_mov_b32 v47, v2 :: v_dual_add_nc_u32 v3, v119, v3
	s_delay_alu instid0(VALU_DEP_1) | instskip(SKIP_1) | instid1(VALU_DEP_2)
	v_and_b32_e32 v119, v3, v63
	v_sub_nc_u32_e32 v45, 0, v3
	v_cmp_lt_i32_e32 vcc_lo, -1, v119
	s_delay_alu instid0(VALU_DEP_2) | instskip(NEXT) | instid1(VALU_DEP_1)
	v_cndmask_b32_e32 v46, v45, v3, vcc_lo
	v_mul_u64_e32 v[72:73], s[20:21], v[46:47]
	s_delay_alu instid0(VALU_DEP_1) | instskip(NEXT) | instid1(VALU_DEP_1)
	v_mul_lo_u32 v3, s63, v73
	v_sub_nc_u32_e32 v3, v46, v3
	s_delay_alu instid0(VALU_DEP_1) | instskip(NEXT) | instid1(VALU_DEP_1)
	v_cmp_le_u32_e64 s13, s63, v3
	v_add_co_ci_u32_e64 v3, null, 0, v73, s13
	s_delay_alu instid0(VALU_DEP_1) | instskip(NEXT) | instid1(VALU_DEP_1)
	v_sub_nc_u32_e32 v119, 0, v3
	v_cndmask_b32_e32 v3, v119, v3, vcc_lo
.LBB2_596:                              ;   Parent Loop BB2_47 Depth=1
                                        ;     Parent Loop BB2_495 Depth=2
                                        ;       Parent Loop BB2_595 Depth=3
                                        ; =>      This Inner Loop Header: Depth=4
	s_cmp_eq_u32 s16, 1
	s_cselect_b32 vcc_lo, -1, 0
	s_cmp_eq_u32 s16, 0
	s_wait_xcnt 0x0
	v_dual_cndmask_b32 v47, v11, v43 :: v_dual_cndmask_b32 v46, v10, v42
	s_cselect_b32 s13, -1, 0
	s_and_b32 s14, exec_lo, s72
	s_mov_b64 s[16:17], 1
	s_mov_b32 s72, 0
	v_add_nc_u64_e32 v[72:73], 0x80, v[46:47]
	flat_store_b32 v[46:47], v3 th:TH_STORE_NT
	v_dual_cndmask_b32 v43, v43, v73 :: v_dual_cndmask_b32 v42, v42, v72
	v_dual_cndmask_b32 v11, v11, v73, s13 :: v_dual_cndmask_b32 v10, v10, v72, s13
	s_mov_b32 vcc_lo, s14
	s_cbranch_vccnz .LBB2_596
; %bb.597:                              ;   in Loop: Header=BB2_595 Depth=3
	v_sub_nc_u32_e32 v44, v44, v54
	s_wait_xcnt 0x2
	v_add_nc_u64_e32 v[8:9], v[8:9], v[82:83]
	s_wait_xcnt 0x1
	v_add_nc_u64_e32 v[40:41], v[40:41], v[82:83]
	v_add_nc_u64_e32 v[10:11], v[10:11], v[70:71]
	;; [unrolled: 1-line block ×3, first 2 shown]
	v_cmp_gt_i32_e32 vcc_lo, 4, v44
	s_or_b32 s15, vcc_lo, s15
	s_wait_xcnt 0x0
	s_and_not1_b32 exec_lo, exec_lo, s15
	s_cbranch_execnz .LBB2_595
.LBB2_598:                              ;   in Loop: Header=BB2_495 Depth=2
	s_or_b32 exec_lo, exec_lo, s73
	s_mov_b32 s13, 0
.LBB2_599:                              ;   in Loop: Header=BB2_495 Depth=2
	s_delay_alu instid0(SALU_CYCLE_1)
	s_and_b32 vcc_lo, exec_lo, s13
	s_cbranch_vccz .LBB2_617
; %bb.600:                              ;   in Loop: Header=BB2_495 Depth=2
	s_mov_b32 s13, -1
	s_and_saveexec_b32 s14, s11
	s_cbranch_execz .LBB2_602
; %bb.601:                              ;   in Loop: Header=BB2_495 Depth=2
	ds_load_b32 v3, v0 offset:720
	s_wait_dscnt 0x0
	v_and_b32_e32 v3, 15, v3
	s_delay_alu instid0(VALU_DEP_1)
	v_cmp_eq_u32_e32 vcc_lo, 0, v3
	s_or_not1_b32 s13, vcc_lo, exec_lo
.LBB2_602:                              ;   in Loop: Header=BB2_495 Depth=2
	s_or_b32 exec_lo, exec_lo, s14
	s_and_saveexec_b32 s14, s7
	s_cbranch_execz .LBB2_604
; %bb.603:                              ;   in Loop: Header=BB2_495 Depth=2
	ds_load_b32 v3, v0 offset:784
	s_wait_dscnt 0x0
	v_and_b32_e32 v3, 15, v3
	s_delay_alu instid0(VALU_DEP_1) | instskip(SKIP_3) | instid1(SALU_CYCLE_1)
	v_cmp_eq_u32_e32 vcc_lo, 0, v3
	s_and_b32 s15, s13, vcc_lo
	s_and_not1_b32 s13, s13, exec_lo
	s_and_b32 s15, s15, exec_lo
	s_or_b32 s13, s13, s15
.LBB2_604:                              ;   in Loop: Header=BB2_495 Depth=2
	s_or_b32 exec_lo, exec_lo, s14
	s_xor_b32 s13, s13, -1
	v_alignbit_b32 v40, v118, v118, 1
	v_cndmask_b32_e64 v3, 0, 1, s13
	s_mov_b32 s13, -1
	s_delay_alu instid0(VALU_DEP_1)
	v_cmp_ne_u32_e32 vcc_lo, 0, v3
	s_cbranch_vccz .LBB2_618
; %bb.605:                              ;   in Loop: Header=BB2_495 Depth=2
	v_alignbit_b32 v8, v118, v118, 1
	s_mov_b32 s72, -1
	s_delay_alu instid0(VALU_DEP_1)
	v_readfirstlane_b32 s14, v8
	s_and_b32 s63, s14, 0x7fffffff
	v_mov_b32_e32 v3, 0
	s_cbranch_execnz .LBB2_619
.LBB2_606:                              ;   in Loop: Header=BB2_495 Depth=2
	v_ashrrev_i32_e32 v3, 31, v103
	v_readfirstlane_b32 s14, v40
	s_mov_b32 s73, exec_lo
	v_dual_sub_nc_u32 v42, v103, v36 :: v_dual_lshrrev_b32 v3, 23, v3
	s_and_b32 s63, s14, 0x7fffffff
	s_delay_alu instid0(VALU_DEP_1) | instskip(NEXT) | instid1(VALU_DEP_1)
	v_add_nc_u32_e32 v3, v103, v3
	v_and_b32_e32 v41, 0xfffffe00, v3
	s_delay_alu instid0(VALU_DEP_1) | instskip(NEXT) | instid1(VALU_DEP_1)
	v_dual_ashrrev_i32 v3, 9, v3 :: v_dual_sub_nc_u32 v43, v103, v41
	v_sub_nc_u32_e32 v3, v3, v58
	s_delay_alu instid0(VALU_DEP_2) | instskip(NEXT) | instid1(VALU_DEP_2)
	v_cmp_lt_i32_e32 vcc_lo, 15, v43
	v_add_co_ci_u32_e64 v44, null, 0, v3, vcc_lo
	v_cmpx_lt_i32_e32 15, v42
	s_cbranch_execz .LBB2_610
; %bb.607:                              ;   in Loop: Header=BB2_495 Depth=2
	s_cvt_f32_u32 s13, s63
	s_trap 2
	ds_load_b64 v[10:11], v0
	s_sub_co_i32 s14, 0, s63
	v_rcp_iflag_f32_e32 v3, s13
	v_add_nc_u64_e32 v[8:9], v[116:117], v[36:37]
	v_add_nc_u64_e32 v[118:119], v[114:115], v[36:37]
	s_mov_b32 s74, 0
	s_delay_alu instid0(TRANS32_DEP_1) | instskip(SKIP_1) | instid1(SALU_CYCLE_3)
	v_readfirstlane_b32 s13, v3
	s_mul_f32 s13, s13, 0x4f7ffffe
	s_cvt_u32_f32 s13, s13
	s_wait_dscnt 0x0
	v_add_nc_u64_e32 v[10:11], v[10:11], v[36:37]
	s_delay_alu instid0(SALU_CYCLE_1) | instskip(NEXT) | instid1(SALU_CYCLE_1)
	s_mul_i32 s14, s14, s13
	s_mul_hi_u32 s14, s13, s14
	s_delay_alu instid0(SALU_CYCLE_1) | instskip(NEXT) | instid1(SALU_CYCLE_1)
	s_add_co_i32 s13, s13, s14
	s_mul_hi_u32 s13, s13, -1
	s_delay_alu instid0(SALU_CYCLE_1) | instskip(SKIP_2) | instid1(SALU_CYCLE_1)
	s_mul_i32 s14, s13, s63
	s_add_co_i32 s15, s13, 1
	s_not_b32 s14, s14
	s_sub_co_i32 s16, s14, s63
	s_cmp_ge_u32 s14, s63
	s_cselect_b32 s13, s15, s13
	s_cselect_b32 s14, s16, s14
	s_add_co_i32 s15, s13, 1
	s_cmp_ge_u32 s14, s63
	s_cselect_b32 s20, s15, s13
.LBB2_608:                              ;   Parent Loop BB2_47 Depth=1
                                        ;     Parent Loop BB2_495 Depth=2
                                        ; =>    This Inner Loop Header: Depth=3
	global_load_b128 v[72:75], v[10:11], off th:TH_LOAD_NT
	global_load_b128 v[76:79], v[8:9], off th:TH_LOAD_NT
	v_dual_mov_b32 v95, v2 :: v_dual_mov_b32 v46, v2
	v_dual_mov_b32 v89, v2 :: v_dual_mov_b32 v91, v2
	v_mov_b32_e32 v93, v2
	s_wait_xcnt 0x0
	v_add_nc_u64_e32 v[8:9], v[8:9], v[50:51]
	v_add_nc_u64_e32 v[10:11], v[10:11], v[50:51]
	v_dual_sub_nc_u32 v44, v44, v32 :: v_dual_sub_nc_u32 v42, v42, v50
	s_wait_loadcnt 0x0
	v_dual_mov_b32 v3, v73 :: v_dual_add_nc_u32 v45, v72, v76
	v_dual_add_nc_u32 v63, v74, v78 :: v_dual_mov_b32 v47, v75
	s_delay_alu instid0(VALU_DEP_2) | instskip(NEXT) | instid1(VALU_DEP_3)
	v_add_nc_u64_e32 v[72:73], v[2:3], v[76:77]
	v_dual_sub_nc_u32 v72, 0, v45 :: v_dual_bitop2_b32 v3, v40, v45 bitop3:0x40
	s_delay_alu instid0(VALU_DEP_3) | instskip(NEXT) | instid1(VALU_DEP_4)
	v_and_b32_e32 v74, v40, v63
	v_add_nc_u64_e32 v[46:47], v[46:47], v[78:79]
	s_delay_alu instid0(VALU_DEP_3) | instskip(SKIP_1) | instid1(VALU_DEP_4)
	v_cmp_lt_i32_e64 s13, -1, v3
	v_sub_nc_u32_e32 v75, 0, v63
	v_cmp_lt_i32_e64 s14, -1, v74
	v_and_b32_e32 v3, v40, v73
	s_delay_alu instid0(VALU_DEP_4) | instskip(SKIP_1) | instid1(VALU_DEP_4)
	v_cndmask_b32_e64 v88, v72, v45, s13
	v_dual_sub_nc_u32 v45, 0, v73 :: v_dual_bitop2_b32 v46, v40, v47 bitop3:0x40
	v_cndmask_b32_e64 v92, v75, v63, s14
	s_delay_alu instid0(VALU_DEP_4) | instskip(SKIP_4) | instid1(VALU_DEP_2)
	v_cmp_lt_i32_e64 s15, -1, v3
	v_sub_nc_u32_e32 v63, 0, v47
	v_mul_u64_e32 v[74:75], s[20:21], v[88:89]
	v_cmp_lt_i32_e64 s16, -1, v46
	v_mul_u64_e32 v[76:77], s[20:21], v[92:93]
	v_dual_cndmask_b32 v90, v45, v73, s15 :: v_dual_cndmask_b32 v94, v63, v47, s16
	s_delay_alu instid0(VALU_DEP_1) | instskip(NEXT) | instid1(VALU_DEP_2)
	v_mul_u64_e32 v[46:47], s[20:21], v[90:91]
	v_mul_u64_e32 v[72:73], s[20:21], v[94:95]
	v_mul_lo_u32 v3, s63, v75
	v_mul_lo_u32 v45, s63, v77
	s_delay_alu instid0(VALU_DEP_4) | instskip(NEXT) | instid1(VALU_DEP_4)
	v_mul_lo_u32 v46, s63, v47
	v_mul_lo_u32 v63, s63, v73
	s_delay_alu instid0(VALU_DEP_4) | instskip(NEXT) | instid1(VALU_DEP_3)
	v_sub_nc_u32_e32 v3, v88, v3
	v_dual_sub_nc_u32 v45, v92, v45 :: v_dual_sub_nc_u32 v46, v90, v46
	s_delay_alu instid0(VALU_DEP_2) | instskip(NEXT) | instid1(VALU_DEP_4)
	v_cmp_le_u32_e64 s17, s63, v3
	v_sub_nc_u32_e32 v63, v94, v63
	s_delay_alu instid0(VALU_DEP_2) | instskip(NEXT) | instid1(VALU_DEP_4)
	v_add_co_ci_u32_e64 v3, null, 0, v75, s17
	v_cmp_le_u32_e64 s17, s63, v45
	s_delay_alu instid0(VALU_DEP_1) | instskip(SKIP_1) | instid1(VALU_DEP_1)
	v_add_co_ci_u32_e64 v45, null, 0, v77, s17
	v_cmp_le_u32_e64 s17, s63, v46
	v_add_co_ci_u32_e64 v46, null, 0, v47, s17
	v_cmp_le_u32_e64 s17, s63, v63
	v_sub_nc_u32_e32 v63, 0, v3
	s_delay_alu instid0(VALU_DEP_2) | instskip(NEXT) | instid1(VALU_DEP_4)
	v_add_co_ci_u32_e64 v47, null, 0, v73, s17
	v_dual_sub_nc_u32 v73, 0, v45 :: v_dual_sub_nc_u32 v75, 0, v46
	s_delay_alu instid0(VALU_DEP_3) | instskip(NEXT) | instid1(VALU_DEP_3)
	v_cndmask_b32_e64 v72, v63, v3, s13
	v_sub_nc_u32_e32 v76, 0, v47
	v_cmp_gt_i32_e64 s13, 16, v42
	s_delay_alu instid0(VALU_DEP_4) | instskip(NEXT) | instid1(VALU_DEP_3)
	v_dual_cndmask_b32 v74, v73, v45, s14 :: v_dual_cndmask_b32 v73, v75, v46, s15
	v_cndmask_b32_e64 v75, v76, v47, s16
	s_or_b32 s74, s13, s74
	global_store_b128 v[118:119], v[72:75], off th:TH_STORE_NT
	s_wait_xcnt 0x0
	v_add_nc_u64_e32 v[118:119], v[118:119], v[50:51]
	s_and_not1_b32 exec_lo, exec_lo, s74
	s_cbranch_execnz .LBB2_608
; %bb.609:                              ;   in Loop: Header=BB2_495 Depth=2
	s_or_b32 exec_lo, exec_lo, s74
.LBB2_610:                              ;   in Loop: Header=BB2_495 Depth=2
	s_delay_alu instid0(SALU_CYCLE_1) | instskip(SKIP_2) | instid1(VALU_DEP_1)
	s_or_b32 exec_lo, exec_lo, s73
	v_and_b32_e32 v8, 12, v103
	s_mov_b32 s73, exec_lo
                                        ; implicit-def: $vgpr103
                                        ; implicit-def: $vgpr3
                                        ; implicit-def: $vgpr46
	v_cndmask_b32_e32 v42, v43, v8, vcc_lo
	s_delay_alu instid0(VALU_DEP_1)
	v_cmpx_ne_u32_e32 0, v42
	s_cbranch_execz .LBB2_616
; %bb.611:                              ;   in Loop: Header=BB2_495 Depth=2
	v_cmp_lt_i32_e64 s13, 0, v44
	s_mov_b32 s74, exec_lo
	v_dual_ashrrev_i32 v10, 31, v42 :: v_dual_cndmask_b32 v3, 0, v32, s13
	s_delay_alu instid0(VALU_DEP_1) | instskip(NEXT) | instid1(VALU_DEP_1)
	v_dual_lshrrev_b32 v10, 23, v10 :: v_dual_sub_nc_u32 v3, v3, v44
	v_dual_add_nc_u32 v10, v42, v10 :: v_dual_sub_nc_u32 v8, v43, v8
	s_delay_alu instid0(VALU_DEP_2) | instskip(NEXT) | instid1(VALU_DEP_2)
	v_lshl_or_b32 v3, v3, 5, v57
	v_and_b32_e32 v45, 0xfffffe00, v10
	s_delay_alu instid0(VALU_DEP_2) | instskip(NEXT) | instid1(VALU_DEP_2)
	v_dual_ashrrev_i32 v10, 9, v10 :: v_dual_ashrrev_i32 v9, 31, v3
	v_sub_nc_u32_e32 v103, v42, v45
	s_delay_alu instid0(VALU_DEP_2) | instskip(NEXT) | instid1(VALU_DEP_1)
	v_lshrrev_b32_e32 v9, 27, v9
	v_add_nc_u32_e32 v9, v3, v9
	s_delay_alu instid0(VALU_DEP_1) | instskip(NEXT) | instid1(VALU_DEP_1)
	v_and_b32_e32 v11, 0xffffffe0, v9
	v_dual_ashrrev_i32 v9, 5, v9 :: v_dual_sub_nc_u32 v44, v3, v11
	s_delay_alu instid0(VALU_DEP_1) | instskip(NEXT) | instid1(VALU_DEP_1)
	v_lshlrev_b32_e32 v3, 4, v44
	v_lshl_add_u32 v3, v9, 9, v3
	v_cndmask_b32_e32 v8, 0, v8, vcc_lo
	v_cmp_lt_i32_e32 vcc_lo, 15, v103
	s_delay_alu instid0(VALU_DEP_2) | instskip(SKIP_1) | instid1(VALU_DEP_1)
	v_dual_sub_nc_u32 v46, v42, v3 :: v_dual_add_nc_u32 v41, v8, v41
	v_add_co_ci_u32_e64 v10, null, 0, v10, vcc_lo
	v_sub_nc_u32_e32 v43, v10, v9
	s_delay_alu instid0(VALU_DEP_3)
	v_cmpx_lt_i32_e32 15, v46
	s_cbranch_execz .LBB2_615
; %bb.612:                              ;   in Loop: Header=BB2_495 Depth=2
	s_cvt_f32_u32 s13, s63
	s_trap 2
	ds_load_b64 v[10:11], v0
	s_sub_co_i32 s14, 0, s63
	v_rcp_iflag_f32_e32 v8, s13
	v_add_nc_u32_e32 v118, v3, v41
	s_mov_b32 s75, 0
	s_delay_alu instid0(VALU_DEP_1) | instskip(NEXT) | instid1(TRANS32_DEP_1)
	v_ashrrev_i32_e32 v119, 31, v118
	v_readfirstlane_b32 s13, v8
	s_delay_alu instid0(VALU_DEP_2) | instskip(SKIP_1) | instid1(SALU_CYCLE_3)
	v_add_nc_u64_e32 v[8:9], v[118:119], v[116:117]
	s_mul_f32 s13, s13, 0x4f7ffffe
	s_cvt_u32_f32 s13, s13
	s_wait_dscnt 0x0
	v_add_nc_u64_e32 v[10:11], v[10:11], v[118:119]
	v_add_nc_u64_e32 v[118:119], v[118:119], v[114:115]
	s_mul_i32 s14, s14, s13
	s_delay_alu instid0(SALU_CYCLE_1) | instskip(NEXT) | instid1(SALU_CYCLE_1)
	s_mul_hi_u32 s14, s13, s14
	s_add_co_i32 s13, s13, s14
	s_delay_alu instid0(SALU_CYCLE_1) | instskip(NEXT) | instid1(SALU_CYCLE_1)
	s_mul_hi_u32 s13, s13, -1
	s_mul_i32 s14, s13, s63
	s_add_co_i32 s15, s13, 1
	s_not_b32 s14, s14
	s_delay_alu instid0(SALU_CYCLE_1)
	s_sub_co_i32 s16, s14, s63
	s_cmp_ge_u32 s14, s63
	s_cselect_b32 s13, s15, s13
	s_cselect_b32 s14, s16, s14
	s_add_co_i32 s15, s13, 1
	s_cmp_ge_u32 s14, s63
	s_cselect_b32 s20, s15, s13
.LBB2_613:                              ;   Parent Loop BB2_47 Depth=1
                                        ;     Parent Loop BB2_495 Depth=2
                                        ; =>    This Inner Loop Header: Depth=3
	global_load_b128 v[72:75], v[10:11], off th:TH_LOAD_NT
	global_load_b128 v[76:79], v[8:9], off th:TH_LOAD_NT
	v_dual_mov_b32 v105, v2 :: v_dual_mov_b32 v88, v2
	v_dual_mov_b32 v91, v2 :: v_dual_mov_b32 v93, v2
	v_mov_b32_e32 v95, v2
	s_wait_xcnt 0x0
	v_add_nc_u64_e32 v[8:9], v[8:9], v[50:51]
	v_add_nc_u64_e32 v[10:11], v[10:11], v[50:51]
	v_dual_sub_nc_u32 v46, v46, v50 :: v_dual_sub_nc_u32 v43, v43, v32
	s_wait_loadcnt 0x0
	v_dual_mov_b32 v3, v73 :: v_dual_add_nc_u32 v47, v72, v76
	v_dual_add_nc_u32 v63, v74, v78 :: v_dual_mov_b32 v89, v75
	s_delay_alu instid0(VALU_DEP_2) | instskip(NEXT) | instid1(VALU_DEP_3)
	v_add_nc_u64_e32 v[72:73], v[2:3], v[76:77]
	v_and_b32_e32 v3, v40, v47
	s_delay_alu instid0(VALU_DEP_3) | instskip(NEXT) | instid1(VALU_DEP_4)
	v_dual_sub_nc_u32 v77, 0, v63 :: v_dual_bitop2_b32 v76, v40, v63 bitop3:0x40
	v_add_nc_u64_e32 v[74:75], v[88:89], v[78:79]
	v_sub_nc_u32_e32 v72, 0, v47
	s_delay_alu instid0(VALU_DEP_4) | instskip(NEXT) | instid1(VALU_DEP_4)
	v_cmp_lt_i32_e64 s13, -1, v3
	v_cmp_lt_i32_e64 s14, -1, v76
	v_and_b32_e32 v3, v40, v73
	s_delay_alu instid0(VALU_DEP_3) | instskip(NEXT) | instid1(VALU_DEP_2)
	v_dual_cndmask_b32 v90, v72, v47, s13 :: v_dual_sub_nc_u32 v47, 0, v73
	v_cmp_lt_i32_e64 s15, -1, v3
	s_delay_alu instid0(VALU_DEP_4) | instskip(SKIP_1) | instid1(VALU_DEP_4)
	v_cndmask_b32_e64 v94, v77, v63, s14
	v_dual_sub_nc_u32 v72, 0, v75 :: v_dual_bitop2_b32 v63, v40, v75 bitop3:0x40
	v_mul_u64_e32 v[76:77], s[20:21], v[90:91]
	s_delay_alu instid0(VALU_DEP_4) | instskip(NEXT) | instid1(VALU_DEP_4)
	v_cndmask_b32_e64 v92, v47, v73, s15
	v_mul_u64_e32 v[78:79], s[20:21], v[94:95]
	s_delay_alu instid0(VALU_DEP_4) | instskip(NEXT) | instid1(VALU_DEP_1)
	v_cmp_lt_i32_e64 s16, -1, v63
	v_cndmask_b32_e64 v104, v72, v75, s16
	s_delay_alu instid0(VALU_DEP_4) | instskip(NEXT) | instid1(VALU_DEP_2)
	v_mul_u64_e32 v[72:73], s[20:21], v[92:93]
	v_mul_u64_e32 v[74:75], s[20:21], v[104:105]
	v_mul_lo_u32 v3, s63, v77
	v_mul_lo_u32 v47, s63, v79
	s_delay_alu instid0(VALU_DEP_4) | instskip(NEXT) | instid1(VALU_DEP_4)
	v_mul_lo_u32 v63, s63, v73
	v_mul_lo_u32 v72, s63, v75
	s_delay_alu instid0(VALU_DEP_4) | instskip(NEXT) | instid1(VALU_DEP_4)
	v_sub_nc_u32_e32 v3, v90, v3
	v_sub_nc_u32_e32 v47, v94, v47
	s_delay_alu instid0(VALU_DEP_4) | instskip(NEXT) | instid1(VALU_DEP_4)
	v_sub_nc_u32_e32 v63, v92, v63
	v_sub_nc_u32_e32 v72, v104, v72
	s_delay_alu instid0(VALU_DEP_4) | instskip(NEXT) | instid1(VALU_DEP_1)
	v_cmp_le_u32_e64 s17, s63, v3
	v_add_co_ci_u32_e64 v3, null, 0, v77, s17
	v_cmp_le_u32_e64 s17, s63, v47
	s_delay_alu instid0(VALU_DEP_1) | instskip(SKIP_1) | instid1(VALU_DEP_1)
	v_add_co_ci_u32_e64 v47, null, 0, v79, s17
	v_cmp_le_u32_e64 s17, s63, v63
	v_add_co_ci_u32_e64 v63, null, 0, v73, s17
	v_cmp_le_u32_e64 s17, s63, v72
	v_sub_nc_u32_e32 v72, 0, v3
	v_sub_nc_u32_e32 v73, 0, v47
	s_delay_alu instid0(VALU_DEP_4) | instskip(NEXT) | instid1(VALU_DEP_4)
	v_sub_nc_u32_e32 v76, 0, v63
	v_add_co_ci_u32_e64 v75, null, 0, v75, s17
	s_delay_alu instid0(VALU_DEP_4) | instskip(NEXT) | instid1(VALU_DEP_4)
	v_cndmask_b32_e64 v72, v72, v3, s13
	v_cndmask_b32_e64 v74, v73, v47, s14
	s_delay_alu instid0(VALU_DEP_4) | instskip(NEXT) | instid1(VALU_DEP_4)
	v_cndmask_b32_e64 v73, v76, v63, s15
	v_sub_nc_u32_e32 v77, 0, v75
	v_cmp_gt_i32_e64 s13, 16, v46
	s_delay_alu instid0(VALU_DEP_2)
	v_cndmask_b32_e64 v75, v77, v75, s16
	s_or_b32 s75, s13, s75
	global_store_b128 v[118:119], v[72:75], off th:TH_STORE_NT
	s_wait_xcnt 0x0
	v_add_nc_u64_e32 v[118:119], v[118:119], v[50:51]
	s_and_not1_b32 exec_lo, exec_lo, s75
	s_cbranch_execnz .LBB2_613
; %bb.614:                              ;   in Loop: Header=BB2_495 Depth=2
	s_or_b32 exec_lo, exec_lo, s75
.LBB2_615:                              ;   in Loop: Header=BB2_495 Depth=2
	s_delay_alu instid0(SALU_CYCLE_1) | instskip(NEXT) | instid1(VALU_DEP_2)
	s_or_b32 exec_lo, exec_lo, s74
	v_cmp_lt_i32_e64 s13, 0, v43
	s_delay_alu instid0(VALU_DEP_1) | instskip(NEXT) | instid1(VALU_DEP_1)
	v_dual_cndmask_b32 v8, 0, v32, s13 :: v_dual_bitop2_b32 v3, 12, v42 bitop3:0x40
	v_dual_sub_nc_u32 v9, v103, v3 :: v_dual_cndmask_b32 v103, v103, v3, vcc_lo
	s_and_not1_b32 s13, s72, exec_lo
	s_delay_alu instid0(VALU_DEP_1) | instskip(NEXT) | instid1(VALU_DEP_2)
	v_dual_cndmask_b32 v8, 0, v9 :: v_dual_sub_nc_u32 v3, v8, v43
	v_cmp_ne_u32_e32 vcc_lo, 0, v103
	s_delay_alu instid0(VALU_DEP_2) | instskip(NEXT) | instid1(VALU_DEP_3)
	v_lshl_add_u32 v46, v3, 5, v44
	v_add3_u32 v3, v45, v41, v8
	s_and_b32 s14, vcc_lo, exec_lo
	s_delay_alu instid0(SALU_CYCLE_1)
	s_or_b32 s72, s13, s14
.LBB2_616:                              ;   in Loop: Header=BB2_495 Depth=2
	s_or_b32 exec_lo, exec_lo, s73
	s_and_saveexec_b32 s15, s72
	s_cbranch_execnz .LBB2_620
	s_branch .LBB2_628
.LBB2_617:                              ;   in Loop: Header=BB2_495 Depth=2
	v_cmp_lt_i32_e64 s13, 0, v101
	s_and_saveexec_b32 s14, s2
	s_cbranch_execnz .LBB2_629
	s_branch .LBB2_647
.LBB2_618:                              ;   in Loop: Header=BB2_495 Depth=2
	s_mov_b32 s72, 0
                                        ; implicit-def: $vgpr8
                                        ; implicit-def: $sgpr63
	v_mov_b32_e32 v3, 0
	s_and_not1_b32 vcc_lo, exec_lo, s13
	s_cbranch_vccz .LBB2_606
.LBB2_619:                              ;   in Loop: Header=BB2_495 Depth=2
	v_dual_mov_b32 v46, v0 :: v_dual_mov_b32 v40, v8
	s_and_saveexec_b32 s15, s72
	s_cbranch_execz .LBB2_628
.LBB2_620:                              ;   in Loop: Header=BB2_495 Depth=2
	s_delay_alu instid0(VALU_DEP_1) | instskip(SKIP_1) | instid1(VALU_DEP_1)
	v_dual_ashrrev_i32 v8, 31, v46 :: v_dual_ashrrev_i32 v9, 31, v103
	s_mov_b32 s16, exec_lo
	v_dual_lshrrev_b32 v8, 27, v8 :: v_dual_lshrrev_b32 v9, 24, v9
	s_delay_alu instid0(VALU_DEP_1) | instskip(NEXT) | instid1(VALU_DEP_1)
	v_dual_add_nc_u32 v8, v46, v8 :: v_dual_add_nc_u32 v9, v103, v9
	v_dual_ashrrev_i32 v41, 5, v8 :: v_dual_ashrrev_i32 v43, 8, v9
	s_delay_alu instid0(VALU_DEP_1) | instskip(NEXT) | instid1(VALU_DEP_1)
	v_sub_nc_u32_e32 v42, v43, v41
	v_cmpx_lt_i32_e32 0, v42
	s_cbranch_execz .LBB2_624
; %bb.621:                              ;   in Loop: Header=BB2_495 Depth=2
	s_cvt_f32_u32 s13, s63
	v_and_b32_e32 v8, 0x3fffffe0, v8
	s_trap 2
	ds_load_b64 v[10:11], v0
	v_rcp_iflag_f32_e32 v9, s13
	s_sub_co_i32 s14, 0, s63
	v_sub_nc_u32_e32 v8, v46, v8
	s_delay_alu instid0(TRANS32_DEP_1) | instskip(NEXT) | instid1(VALU_DEP_2)
	v_readfirstlane_b32 s13, v9
	v_dual_lshlrev_b32 v9, 8, v41 :: v_dual_lshlrev_b32 v8, 2, v8
	s_mul_f32 s13, s13, 0x4f7ffffe
	s_delay_alu instid0(VALU_DEP_1) | instskip(NEXT) | instid1(SALU_CYCLE_2)
	v_add3_u32 v118, v8, v3, v9
	s_cvt_u32_f32 s13, s13
	s_delay_alu instid0(VALU_DEP_1) | instskip(NEXT) | instid1(SALU_CYCLE_2)
	v_ashrrev_i32_e32 v119, 31, v118
	s_mul_i32 s14, s14, s13
	s_delay_alu instid0(SALU_CYCLE_1) | instskip(NEXT) | instid1(VALU_DEP_1)
	s_mul_hi_u32 s14, s13, s14
	v_add_nc_u64_e32 v[8:9], v[118:119], v[116:117]
	s_add_co_i32 s13, s13, s14
	s_wait_dscnt 0x0
	v_add_nc_u64_e32 v[10:11], v[10:11], v[118:119]
	s_mul_hi_u32 s13, s13, -1
	v_add_nc_u64_e32 v[118:119], v[118:119], v[114:115]
	s_mul_i32 s14, s13, s63
	s_add_co_i32 s17, s13, 1
	s_not_b32 s14, s14
	s_delay_alu instid0(SALU_CYCLE_1)
	s_sub_co_i32 s20, s14, s63
	s_cmp_ge_u32 s14, s63
	s_cselect_b32 s13, s17, s13
	s_cselect_b32 s14, s20, s14
	s_add_co_i32 s20, s13, 1
	s_cmp_ge_u32 s14, s63
	s_mov_b32 s17, 0
	s_cselect_b32 s20, s20, s13
.LBB2_622:                              ;   Parent Loop BB2_47 Depth=1
                                        ;     Parent Loop BB2_495 Depth=2
                                        ; =>    This Inner Loop Header: Depth=3
	flat_load_b32 v44, v[10:11] th:TH_LOAD_NT
	s_clause 0x1
	flat_load_b32 v47, v[8:9] th:TH_LOAD_NT
	flat_load_b32 v63, v[8:9] offset:128 th:TH_LOAD_NT
	flat_load_b32 v72, v[10:11] offset:128 th:TH_LOAD_NT
	v_dual_mov_b32 v45, v2 :: v_dual_mov_b32 v73, v2
	s_wait_xcnt 0x1
	v_add_nc_u64_e32 v[8:9], v[8:9], v[52:53]
	s_wait_xcnt 0x0
	v_add_nc_u64_e32 v[10:11], v[10:11], v[52:53]
	s_wait_loadcnt_dscnt 0x202
	v_add_nc_u32_e32 v44, v44, v47
	s_wait_loadcnt_dscnt 0x0
	v_add_nc_u32_e32 v47, v72, v63
	s_delay_alu instid0(VALU_DEP_1) | instskip(NEXT) | instid1(VALU_DEP_3)
	v_and_b32_e32 v74, v47, v40
	v_sub_nc_u32_e32 v72, 0, v44
	v_dual_sub_nc_u32 v75, 0, v47 :: v_dual_bitop2_b32 v63, v44, v40 bitop3:0x40
	s_delay_alu instid0(VALU_DEP_3) | instskip(NEXT) | instid1(VALU_DEP_2)
	v_cmp_lt_i32_e64 s13, -1, v74
	v_cmp_lt_i32_e32 vcc_lo, -1, v63
	s_delay_alu instid0(VALU_DEP_2) | instskip(NEXT) | instid1(VALU_DEP_1)
	v_dual_cndmask_b32 v44, v72, v44, vcc_lo :: v_dual_cndmask_b32 v72, v75, v47, s13
	v_mul_u64_e32 v[74:75], s[20:21], v[44:45]
	s_delay_alu instid0(VALU_DEP_2) | instskip(NEXT) | instid1(VALU_DEP_2)
	v_mul_u64_e32 v[76:77], s[20:21], v[72:73]
	v_mul_lo_u32 v45, s63, v75
	s_delay_alu instid0(VALU_DEP_2) | instskip(NEXT) | instid1(VALU_DEP_2)
	v_mul_lo_u32 v47, s63, v77
	v_sub_nc_u32_e32 v44, v44, v45
	s_delay_alu instid0(VALU_DEP_1) | instskip(NEXT) | instid1(VALU_DEP_1)
	v_cmp_le_u32_e64 s14, s63, v44
	v_add_co_ci_u32_e64 v44, null, 0, v75, s14
	s_delay_alu instid0(VALU_DEP_1) | instskip(NEXT) | instid1(VALU_DEP_1)
	v_dual_sub_nc_u32 v45, v72, v47 :: v_dual_sub_nc_u32 v47, 0, v44
	v_cmp_le_u32_e64 s14, s63, v45
	s_delay_alu instid0(VALU_DEP_2) | instskip(NEXT) | instid1(VALU_DEP_2)
	v_cndmask_b32_e32 v44, v47, v44, vcc_lo
	v_add_co_ci_u32_e64 v45, null, 0, v77, s14
	s_delay_alu instid0(VALU_DEP_1) | instskip(NEXT) | instid1(VALU_DEP_1)
	v_dual_sub_nc_u32 v63, 0, v45 :: v_dual_sub_nc_u32 v42, v42, v32
	v_cndmask_b32_e64 v45, v63, v45, s13
	s_delay_alu instid0(VALU_DEP_2)
	v_cmp_gt_i32_e32 vcc_lo, 1, v42
	s_clause 0x1
	flat_store_b32 v[118:119], v44 th:TH_STORE_NT
	flat_store_b32 v[118:119], v45 offset:128 th:TH_STORE_NT
	s_wait_xcnt 0x0
	v_add_nc_u64_e32 v[118:119], v[118:119], v[52:53]
	s_or_b32 s17, vcc_lo, s17
	s_delay_alu instid0(SALU_CYCLE_1)
	s_and_not1_b32 exec_lo, exec_lo, s17
	s_cbranch_execnz .LBB2_622
; %bb.623:                              ;   in Loop: Header=BB2_495 Depth=2
	s_or_b32 exec_lo, exec_lo, s17
.LBB2_624:                              ;   in Loop: Header=BB2_495 Depth=2
	s_delay_alu instid0(SALU_CYCLE_1) | instskip(SKIP_1) | instid1(VALU_DEP_1)
	s_or_b32 exec_lo, exec_lo, s16
	v_lshlrev_b32_e32 v8, 8, v43
	v_cmp_ne_u32_e32 vcc_lo, v103, v8
	s_and_b32 exec_lo, exec_lo, vcc_lo
	s_cbranch_execz .LBB2_628
; %bb.625:                              ;   in Loop: Header=BB2_495 Depth=2
	v_dual_lshlrev_b32 v9, 5, v41 :: v_dual_lshlrev_b32 v10, 5, v42
	s_delay_alu instid0(VALU_DEP_1) | instskip(NEXT) | instid1(VALU_DEP_1)
	v_sub_nc_u32_e32 v9, v46, v9
	v_sub_nc_u32_e32 v9, v9, v10
	s_delay_alu instid0(VALU_DEP_1) | instskip(NEXT) | instid1(VALU_DEP_1)
	v_ashrrev_i32_e32 v10, 31, v9
	v_lshrrev_b32_e32 v10, 27, v10
	s_delay_alu instid0(VALU_DEP_1) | instskip(NEXT) | instid1(VALU_DEP_1)
	v_add_nc_u32_e32 v10, v9, v10
	v_and_b32_e32 v11, 0x3fffffe0, v10
	s_delay_alu instid0(VALU_DEP_1) | instskip(NEXT) | instid1(VALU_DEP_1)
	v_dual_lshlrev_b32 v10, 2, v10 :: v_dual_sub_nc_u32 v9, v9, v11
	v_and_b32_e32 v10, 0xffffff80, v10
	s_delay_alu instid0(VALU_DEP_2) | instskip(NEXT) | instid1(VALU_DEP_1)
	v_lshlrev_b32_e32 v9, 2, v9
	v_add3_u32 v8, v10, v9, v8
	s_delay_alu instid0(VALU_DEP_1) | instskip(NEXT) | instid1(VALU_DEP_1)
	v_sub_nc_u32_e32 v103, v103, v8
	v_cmp_lt_i32_e32 vcc_lo, 3, v103
	s_and_b32 exec_lo, exec_lo, vcc_lo
	s_cbranch_execz .LBB2_628
; %bb.626:                              ;   in Loop: Header=BB2_495 Depth=2
	s_cvt_f32_u32 s13, s63
	s_trap 2
	ds_load_b64 v[10:11], v0
	s_sub_co_i32 s14, 0, s63
	v_rcp_iflag_f32_e32 v9, s13
	v_add_nc_u32_e32 v118, v8, v3
	s_delay_alu instid0(VALU_DEP_1) | instskip(NEXT) | instid1(TRANS32_DEP_1)
	v_ashrrev_i32_e32 v119, 31, v118
	v_readfirstlane_b32 s13, v9
	s_delay_alu instid0(VALU_DEP_2) | instskip(SKIP_2) | instid1(SALU_CYCLE_2)
	v_add_nc_u64_e32 v[8:9], v[118:119], v[116:117]
	s_mul_f32 s13, s13, 0x4f7ffffe
	v_add_nc_u64_e32 v[114:115], v[118:119], v[114:115]
	s_cvt_u32_f32 s13, s13
	s_wait_dscnt 0x0
	v_add_nc_u64_e32 v[10:11], v[10:11], v[118:119]
	s_delay_alu instid0(SALU_CYCLE_1) | instskip(NEXT) | instid1(SALU_CYCLE_1)
	s_mul_i32 s14, s14, s13
	s_mul_hi_u32 s14, s13, s14
	s_delay_alu instid0(SALU_CYCLE_1) | instskip(NEXT) | instid1(SALU_CYCLE_1)
	s_add_co_i32 s13, s13, s14
	s_mul_hi_u32 s13, s13, -1
	s_delay_alu instid0(SALU_CYCLE_1) | instskip(SKIP_2) | instid1(SALU_CYCLE_1)
	s_mul_i32 s14, s13, s63
	s_add_co_i32 s16, s13, 1
	s_not_b32 s14, s14
	s_sub_co_i32 s17, s14, s63
	s_cmp_ge_u32 s14, s63
	s_cselect_b32 s13, s16, s13
	s_cselect_b32 s14, s17, s14
	s_add_co_i32 s16, s13, 1
	s_cmp_ge_u32 s14, s63
	s_mov_b32 s14, 0
	s_cselect_b32 s20, s16, s13
.LBB2_627:                              ;   Parent Loop BB2_47 Depth=1
                                        ;     Parent Loop BB2_495 Depth=2
                                        ; =>    This Inner Loop Header: Depth=3
	flat_load_b32 v3, v[8:9] th:TH_LOAD_NT
	flat_load_b32 v116, v[10:11] th:TH_LOAD_NT
	v_mov_b32_e32 v117, v2
	s_wait_xcnt 0x1
	v_add_nc_u64_e32 v[8:9], v[8:9], v[54:55]
	s_wait_xcnt 0x0
	v_add_nc_u64_e32 v[10:11], v[10:11], v[54:55]
	s_wait_loadcnt_dscnt 0x0
	v_dual_sub_nc_u32 v103, v103, v54 :: v_dual_add_nc_u32 v3, v116, v3
	s_delay_alu instid0(VALU_DEP_1) | instskip(NEXT) | instid1(VALU_DEP_1)
	v_dual_sub_nc_u32 v118, 0, v3 :: v_dual_bitop2_b32 v116, v3, v40 bitop3:0x40
	v_cmp_lt_i32_e32 vcc_lo, -1, v116
	s_delay_alu instid0(VALU_DEP_2) | instskip(NEXT) | instid1(VALU_DEP_1)
	v_cndmask_b32_e32 v116, v118, v3, vcc_lo
	v_mul_u64_e32 v[118:119], s[20:21], v[116:117]
	s_delay_alu instid0(VALU_DEP_1) | instskip(NEXT) | instid1(VALU_DEP_1)
	v_mul_lo_u32 v3, s63, v119
	v_sub_nc_u32_e32 v3, v116, v3
	s_delay_alu instid0(VALU_DEP_1) | instskip(NEXT) | instid1(VALU_DEP_1)
	v_cmp_le_u32_e64 s13, s63, v3
	v_add_co_ci_u32_e64 v3, null, 0, v119, s13
	s_delay_alu instid0(VALU_DEP_1) | instskip(NEXT) | instid1(VALU_DEP_1)
	v_sub_nc_u32_e32 v116, 0, v3
	v_cndmask_b32_e32 v3, v116, v3, vcc_lo
	v_cmp_gt_i32_e32 vcc_lo, 4, v103
	flat_store_b32 v[114:115], v3 th:TH_STORE_NT
	s_wait_xcnt 0x0
	v_add_nc_u64_e32 v[114:115], v[114:115], v[54:55]
	s_or_b32 s14, vcc_lo, s14
	s_delay_alu instid0(SALU_CYCLE_1)
	s_and_not1_b32 exec_lo, exec_lo, s14
	s_cbranch_execnz .LBB2_627
.LBB2_628:                              ;   in Loop: Header=BB2_495 Depth=2
	s_or_b32 exec_lo, exec_lo, s15
	v_cmp_lt_i32_e64 s13, 0, v101
	s_and_saveexec_b32 s14, s2
	s_cbranch_execz .LBB2_647
.LBB2_629:                              ;   in Loop: Header=BB2_495 Depth=2
	s_and_saveexec_b32 s15, s3
	s_delay_alu instid0(SALU_CYCLE_1)
	s_xor_b32 s15, exec_lo, s15
	s_cbranch_execz .LBB2_644
; %bb.630:                              ;   in Loop: Header=BB2_495 Depth=2
	s_and_saveexec_b32 s16, s6
	s_cbranch_execz .LBB2_643
; %bb.631:                              ;   in Loop: Header=BB2_495 Depth=2
	s_mov_b32 s20, exec_lo
	s_mov_b32 s17, exec_lo
	v_mbcnt_lo_u32_b32 v3, s20, 0
	global_wb scope:SCOPE_DEV
	s_wait_storecnt 0x0
	s_wait_loadcnt_dscnt 0x0
	global_inv scope:SCOPE_DEV
	v_cmpx_eq_u32_e32 0, v3
	s_cbranch_execz .LBB2_633
; %bb.632:                              ;   in Loop: Header=BB2_495 Depth=2
	s_bcnt1_i32_b32 s20, s20
	s_delay_alu instid0(SALU_CYCLE_1)
	v_dual_mov_b32 v9, v2 :: v_dual_mov_b32 v8, s20
	s_wait_loadcnt 0x0
	ds_add_u64 v0, v[8:9]
	s_trap 2
.LBB2_633:                              ;   in Loop: Header=BB2_495 Depth=2
	s_or_b32 exec_lo, exec_lo, s17
	s_trap 2
	ds_load_b64 v[8:9], v0
	s_wait_dscnt 0x0
	v_add_nc_u64_e32 v[12:13], v[12:13], v[32:33]
	s_mov_b32 s17, exec_lo
	s_delay_alu instid0(VALU_DEP_1)
	v_cmpx_lt_u64_e64 v[8:9], v[12:13]
	s_cbranch_execz .LBB2_642
; %bb.634:                              ;   in Loop: Header=BB2_495 Depth=2
	s_mov_b32 s20, 0
	s_mov_b32 s73, 0
                                        ; implicit-def: $sgpr63
                                        ; implicit-def: $sgpr72
	s_branch .LBB2_636
.LBB2_635:                              ;   in Loop: Header=BB2_636 Depth=3
	s_or_b32 exec_lo, exec_lo, s75
	s_delay_alu instid0(SALU_CYCLE_1) | instskip(NEXT) | instid1(SALU_CYCLE_1)
	s_and_b32 s74, exec_lo, s76
	s_or_b32 s20, s74, s20
	s_and_not1_b32 s63, s63, exec_lo
	s_and_b32 s74, s72, exec_lo
	s_delay_alu instid0(SALU_CYCLE_1)
	s_or_b32 s63, s63, s74
	s_and_not1_b32 exec_lo, exec_lo, s20
	s_cbranch_execz .LBB2_640
.LBB2_636:                              ;   Parent Loop BB2_47 Depth=1
                                        ;     Parent Loop BB2_495 Depth=2
                                        ; =>    This Inner Loop Header: Depth=3
	s_add_co_i32 s73, s73, 1
	s_delay_alu instid0(SALU_CYCLE_1) | instskip(SKIP_1) | instid1(SALU_CYCLE_1)
	s_cmp_lg_u32 s73, 0x2710
	s_cselect_b32 s74, -1, 0
	s_and_b32 vcc_lo, exec_lo, s74
	s_cbranch_vccz .LBB2_638
; %bb.637:                              ;   in Loop: Header=BB2_636 Depth=3
	s_mov_b32 s76, -1
	s_or_b32 s72, s72, exec_lo
	s_and_saveexec_b32 s75, s74
	s_cbranch_execz .LBB2_635
	s_branch .LBB2_639
.LBB2_638:                              ;   in Loop: Header=BB2_636 Depth=3
	s_trap 2
	ds_load_b64 v[8:9], v0
	s_and_not1_b32 s74, s74, exec_lo
	s_mov_b32 s73, 0
	s_wait_loadcnt_dscnt 0x0
	flat_load_b32 v3, v[8:9] scope:SCOPE_SYS
	s_wait_loadcnt_dscnt 0x0
	global_inv scope:SCOPE_SYS
	v_cmp_eq_u32_e32 vcc_lo, 0, v3
	s_and_b32 s75, vcc_lo, exec_lo
	s_delay_alu instid0(SALU_CYCLE_1)
	s_or_b32 s74, s74, s75
	s_mov_b32 s76, -1
	s_or_b32 s72, s72, exec_lo
	s_and_saveexec_b32 s75, s74
	s_cbranch_execz .LBB2_635
.LBB2_639:                              ;   in Loop: Header=BB2_636 Depth=3
	s_sleep 1
	s_trap 2
	ds_load_b64 v[8:9], v0
	s_wait_dscnt 0x0
	s_and_not1_b32 s72, s72, exec_lo
	v_cmp_ge_u64_e32 vcc_lo, v[8:9], v[12:13]
	s_or_not1_b32 s76, vcc_lo, exec_lo
	s_branch .LBB2_635
.LBB2_640:                              ;   in Loop: Header=BB2_495 Depth=2
	s_or_b32 exec_lo, exec_lo, s20
	s_and_saveexec_b32 s20, s63
	s_delay_alu instid0(SALU_CYCLE_1)
	s_xor_b32 s20, exec_lo, s20
	s_cbranch_execz .LBB2_642
; %bb.641:                              ;   in Loop: Header=BB2_495 Depth=2
	ds_store_b32 v0, v59
	s_trap 2
.LBB2_642:                              ;   in Loop: Header=BB2_495 Depth=2
	s_or_b32 exec_lo, exec_lo, s17
	;;#ASMSTART
	s_wakeup
	;;#ASMEND
.LBB2_643:                              ;   in Loop: Header=BB2_495 Depth=2
	s_or_b32 exec_lo, exec_lo, s16
.LBB2_644:                              ;   in Loop: Header=BB2_495 Depth=2
	s_and_not1_saveexec_b32 s15, s15
	s_cbranch_execz .LBB2_646
; %bb.645:                              ;   in Loop: Header=BB2_495 Depth=2
	global_wb scope:SCOPE_DEV
	s_wait_storecnt 0x0
	s_wait_loadcnt_dscnt 0x0
	global_inv scope:SCOPE_DEV
	s_barrier_signal -1
	s_barrier_wait -1
.LBB2_646:                              ;   in Loop: Header=BB2_495 Depth=2
	s_or_b32 exec_lo, exec_lo, s15
.LBB2_647:                              ;   in Loop: Header=BB2_495 Depth=2
	s_delay_alu instid0(SALU_CYCLE_1) | instskip(SKIP_2) | instid1(SALU_CYCLE_1)
	s_or_b32 exec_lo, exec_lo, s14
	v_and_b32_e32 v3, 16, v30
	s_and_saveexec_b32 s14, s12
	s_xor_b32 s14, exec_lo, s14
	s_cbranch_execz .LBB2_651
; %bb.648:                              ;   in Loop: Header=BB2_495 Depth=2
	v_and_b32_e32 v3, 16, v30
	s_delay_alu instid0(VALU_DEP_1) | instskip(SKIP_2) | instid1(SALU_CYCLE_1)
	v_cmp_ne_u32_e32 vcc_lo, 0, v3
	v_and_b32_e32 v3, 16, v30
	s_and_b32 s15, vcc_lo, s13
	s_and_saveexec_b32 s13, s15
	s_cbranch_execz .LBB2_650
; %bb.649:                              ;   in Loop: Header=BB2_495 Depth=2
	v_mov_b32_e32 v3, 1
	global_wb scope:SCOPE_SYS
	s_wait_storecnt 0x0
	s_wait_loadcnt_dscnt 0x0
	global_inv scope:SCOPE_SYS
.LBB2_650:                              ;   in Loop: Header=BB2_495 Depth=2
	s_or_b32 exec_lo, exec_lo, s13
.LBB2_651:                              ;   in Loop: Header=BB2_495 Depth=2
	s_and_not1_saveexec_b32 s13, s14
	s_cbranch_execz .LBB2_670
; %bb.652:                              ;   in Loop: Header=BB2_495 Depth=2
	s_and_saveexec_b32 s14, s3
	s_delay_alu instid0(SALU_CYCLE_1)
	s_xor_b32 s14, exec_lo, s14
	s_cbranch_execz .LBB2_667
; %bb.653:                              ;   in Loop: Header=BB2_495 Depth=2
	s_and_saveexec_b32 s15, s6
	s_cbranch_execz .LBB2_666
; %bb.654:                              ;   in Loop: Header=BB2_495 Depth=2
	s_mov_b32 s17, exec_lo
	s_mov_b32 s16, exec_lo
	v_mbcnt_lo_u32_b32 v8, s17, 0
	;;#ASMSTART
	s_waitcnt lgkmcnt(0) vmcnt(0)
	;;#ASMEND
	s_delay_alu instid0(VALU_DEP_1)
	v_cmpx_eq_u32_e32 0, v8
	s_cbranch_execz .LBB2_656
; %bb.655:                              ;   in Loop: Header=BB2_495 Depth=2
	s_bcnt1_i32_b32 s17, s17
	s_delay_alu instid0(SALU_CYCLE_1)
	v_dual_mov_b32 v9, v2 :: v_dual_mov_b32 v8, s17
	s_wait_storecnt 0x0
	s_wait_loadcnt_dscnt 0x0
	ds_add_u64 v0, v[8:9]
	s_trap 2
.LBB2_656:                              ;   in Loop: Header=BB2_495 Depth=2
	s_or_b32 exec_lo, exec_lo, s16
	s_trap 2
	ds_load_b64 v[8:9], v0
	s_wait_dscnt 0x0
	v_add_nc_u64_e32 v[12:13], v[12:13], v[32:33]
	s_mov_b32 s16, exec_lo
	s_delay_alu instid0(VALU_DEP_1)
	v_cmpx_lt_u64_e64 v[8:9], v[12:13]
	s_cbranch_execz .LBB2_665
; %bb.657:                              ;   in Loop: Header=BB2_495 Depth=2
	s_mov_b32 s17, 0
	s_mov_b32 s72, 0
                                        ; implicit-def: $sgpr20
                                        ; implicit-def: $sgpr63
	s_branch .LBB2_659
.LBB2_658:                              ;   in Loop: Header=BB2_659 Depth=3
	s_or_b32 exec_lo, exec_lo, s74
	s_delay_alu instid0(SALU_CYCLE_1) | instskip(NEXT) | instid1(SALU_CYCLE_1)
	s_and_b32 s73, exec_lo, s75
	s_or_b32 s17, s73, s17
	s_and_not1_b32 s20, s20, exec_lo
	s_and_b32 s73, s63, exec_lo
	s_delay_alu instid0(SALU_CYCLE_1)
	s_or_b32 s20, s20, s73
	s_and_not1_b32 exec_lo, exec_lo, s17
	s_cbranch_execz .LBB2_663
.LBB2_659:                              ;   Parent Loop BB2_47 Depth=1
                                        ;     Parent Loop BB2_495 Depth=2
                                        ; =>    This Inner Loop Header: Depth=3
	s_add_co_i32 s72, s72, 1
	s_delay_alu instid0(SALU_CYCLE_1) | instskip(SKIP_1) | instid1(SALU_CYCLE_1)
	s_cmp_lg_u32 s72, 0x2710
	s_cselect_b32 s73, -1, 0
	s_and_b32 vcc_lo, exec_lo, s73
	s_cbranch_vccz .LBB2_661
; %bb.660:                              ;   in Loop: Header=BB2_659 Depth=3
	s_mov_b32 s75, -1
	s_or_b32 s63, s63, exec_lo
	s_and_saveexec_b32 s74, s73
	s_cbranch_execz .LBB2_658
	s_branch .LBB2_662
.LBB2_661:                              ;   in Loop: Header=BB2_659 Depth=3
	s_trap 2
	ds_load_b64 v[8:9], v0
	s_and_not1_b32 s73, s73, exec_lo
	s_mov_b32 s72, 0
	s_wait_storecnt 0x0
	s_wait_loadcnt_dscnt 0x0
	flat_load_b32 v8, v[8:9] scope:SCOPE_SYS
	s_wait_loadcnt_dscnt 0x0
	global_inv scope:SCOPE_SYS
	v_cmp_eq_u32_e32 vcc_lo, 0, v8
	s_and_b32 s74, vcc_lo, exec_lo
	s_delay_alu instid0(SALU_CYCLE_1)
	s_or_b32 s73, s73, s74
	s_mov_b32 s75, -1
	s_or_b32 s63, s63, exec_lo
	s_and_saveexec_b32 s74, s73
	s_cbranch_execz .LBB2_658
.LBB2_662:                              ;   in Loop: Header=BB2_659 Depth=3
	s_sleep 1
	s_trap 2
	ds_load_b64 v[8:9], v0
	s_wait_dscnt 0x0
	s_and_not1_b32 s63, s63, exec_lo
	v_cmp_ge_u64_e32 vcc_lo, v[8:9], v[12:13]
	s_or_not1_b32 s75, vcc_lo, exec_lo
	s_branch .LBB2_658
.LBB2_663:                              ;   in Loop: Header=BB2_495 Depth=2
	s_or_b32 exec_lo, exec_lo, s17
	s_and_saveexec_b32 s17, s20
	s_delay_alu instid0(SALU_CYCLE_1)
	s_xor_b32 s17, exec_lo, s17
	s_cbranch_execz .LBB2_665
; %bb.664:                              ;   in Loop: Header=BB2_495 Depth=2
	ds_store_b32 v0, v59
	s_trap 2
.LBB2_665:                              ;   in Loop: Header=BB2_495 Depth=2
	s_or_b32 exec_lo, exec_lo, s16
	;;#ASMSTART
	s_wakeup
	;;#ASMEND
.LBB2_666:                              ;   in Loop: Header=BB2_495 Depth=2
	s_or_b32 exec_lo, exec_lo, s15
.LBB2_667:                              ;   in Loop: Header=BB2_495 Depth=2
	s_and_not1_saveexec_b32 s14, s14
	s_cbranch_execz .LBB2_669
; %bb.668:                              ;   in Loop: Header=BB2_495 Depth=2
	;;#ASMSTART
	s_waitcnt lgkmcnt(0) vmcnt(0)
	;;#ASMEND
	s_barrier_signal -1
	s_barrier_wait -1
.LBB2_669:                              ;   in Loop: Header=BB2_495 Depth=2
	s_or_b32 exec_lo, exec_lo, s14
.LBB2_670:                              ;   in Loop: Header=BB2_495 Depth=2
	s_delay_alu instid0(SALU_CYCLE_1) | instskip(SKIP_2) | instid1(SALU_CYCLE_1)
	s_or_b32 exec_lo, exec_lo, s13
	v_cmp_ne_u32_e32 vcc_lo, 0, v3
	s_xor_b32 s13, s4, -1
	s_and_b32 s14, vcc_lo, s13
	s_delay_alu instid0(SALU_CYCLE_1)
	s_and_saveexec_b32 s13, s14
	s_cbranch_execz .LBB2_672
; %bb.671:                              ;   in Loop: Header=BB2_495 Depth=2
	global_wb scope:SCOPE_SYS
	s_wait_storecnt 0x0
	s_wait_loadcnt_dscnt 0x0
	flat_store_b32 v[26:27], v59 scope:SCOPE_SYS
.LBB2_672:                              ;   in Loop: Header=BB2_495 Depth=2
	s_wait_xcnt 0x0
	s_or_b32 exec_lo, exec_lo, s13
	v_and_b32_e32 v3, 48, v30
	s_mov_b32 s13, exec_lo
	s_delay_alu instid0(VALU_DEP_1)
	v_cmpx_ne_u32_e32 0, v3
	s_cbranch_execz .LBB2_494
; %bb.673:                              ;   in Loop: Header=BB2_495 Depth=2
	v_add_nc_u64_e32 v[86:87], 2, v[86:87]
	global_wb scope:SCOPE_SYS
	s_wait_storecnt 0x0
	s_wait_loadcnt_dscnt 0x0
	flat_store_b64 v[20:21], v[86:87] scope:SCOPE_SYS
	s_branch .LBB2_494
.LBB2_674:                              ;   in Loop: Header=BB2_47 Depth=1
	s_or_b32 exec_lo, exec_lo, s60
.LBB2_675:                              ;   in Loop: Header=BB2_47 Depth=1
	s_delay_alu instid0(SALU_CYCLE_1) | instskip(NEXT) | instid1(SALU_CYCLE_1)
	s_or_b32 exec_lo, exec_lo, s29
	s_mov_b32 s14, exec_lo
	v_cmpx_gt_i32_e32 2, v3
	s_cbranch_execz .LBB2_751
; %bb.676:                              ;   in Loop: Header=BB2_47 Depth=1
	v_cmp_eq_u32_e64 s16, 0, v3
	s_mov_b32 s15, 0
	s_branch .LBB2_678
.LBB2_677:                              ;   in Loop: Header=BB2_678 Depth=2
	s_wait_xcnt 0x0
	s_or_b32 exec_lo, exec_lo, s13
	v_add_nc_u32_e32 v102, v100, v102
	s_mov_b32 s16, 0
	s_and_not1_b32 exec_lo, exec_lo, s15
	s_cbranch_execz .LBB2_750
.LBB2_678:                              ;   Parent Loop BB2_47 Depth=1
                                        ; =>  This Loop Header: Depth=2
                                        ;       Child Loop BB2_684 Depth 3
                                        ;       Child Loop BB2_712 Depth 3
                                        ;       Child Loop BB2_735 Depth 3
	s_delay_alu instid0(VALU_DEP_1) | instskip(SKIP_2) | instid1(VALU_DEP_2)
	v_sub_nc_u32_e32 v3, v62, v102
	v_and_b32_e32 v8, 12, v30
	s_mov_b32 s17, exec_lo
	v_min_i32_e32 v100, v100, v3
	s_delay_alu instid0(VALU_DEP_2)
	v_cmpx_ne_u32_e32 0, v8
	s_cbranch_execz .LBB2_704
; %bb.679:                              ;   in Loop: Header=BB2_678 Depth=2
	v_dual_mov_b32 v11, v2 :: v_dual_bitop2_b32 v10, 8, v30 bitop3:0x40
	v_add_nc_u64_e32 v[8:9], 2, v[86:87]
	s_mov_b32 s20, exec_lo
	s_wait_loadcnt_dscnt 0x1
	s_delay_alu instid0(VALU_DEP_2) | instskip(NEXT) | instid1(VALU_DEP_1)
	v_add_nc_u64_e32 v[112:113], v[28:29], v[10:11]
	v_cmpx_lt_u64_e64 v[112:113], v[8:9]
	s_cbranch_execz .LBB2_691
; %bb.680:                              ;   in Loop: Header=BB2_678 Depth=2
	v_and_b32_e32 v3, 64, v30
	s_mov_b32 s29, 0
	s_mov_b32 s63, 0
                                        ; implicit-def: $sgpr60
                                        ; implicit-def: $sgpr61
                                        ; implicit-def: $sgpr62
	s_delay_alu instid0(VALU_DEP_1)
	v_cmp_eq_u32_e32 vcc_lo, 0, v3
	s_branch .LBB2_684
.LBB2_681:                              ;   in Loop: Header=BB2_684 Depth=3
	s_wait_loadcnt_dscnt 0x0
	v_add_nc_u64_e32 v[112:113], v[28:29], v[10:11]
	s_or_b32 s74, s74, exec_lo
	s_delay_alu instid0(VALU_DEP_1)
	v_cmp_ge_u64_e64 s13, v[112:113], v[8:9]
	s_or_not1_b32 s73, s13, exec_lo
.LBB2_682:                              ;   in Loop: Header=BB2_684 Depth=3
	s_or_b32 exec_lo, exec_lo, s76
	s_delay_alu instid0(SALU_CYCLE_1)
	s_and_not1_b32 s13, s62, exec_lo
	s_and_b32 s62, s74, exec_lo
	s_and_not1_b32 s61, s61, exec_lo
	s_and_b32 s73, s73, exec_lo
	s_or_b32 s62, s13, s62
	s_or_b32 s61, s61, s73
.LBB2_683:                              ;   in Loop: Header=BB2_684 Depth=3
	s_or_b32 exec_lo, exec_lo, s72
	s_delay_alu instid0(SALU_CYCLE_1) | instskip(NEXT) | instid1(SALU_CYCLE_1)
	s_and_b32 s13, exec_lo, s61
	s_or_b32 s29, s13, s29
	s_and_not1_b32 s13, s60, exec_lo
	s_and_b32 s60, s62, exec_lo
	s_delay_alu instid0(SALU_CYCLE_1)
	s_or_b32 s60, s13, s60
	s_and_not1_b32 exec_lo, exec_lo, s29
	s_cbranch_execz .LBB2_688
.LBB2_684:                              ;   Parent Loop BB2_47 Depth=1
                                        ;     Parent Loop BB2_678 Depth=2
                                        ; =>    This Inner Loop Header: Depth=3
	s_sleep 1
	s_wait_loadcnt_dscnt 0x0
	flat_load_b64 v[28:29], v[20:21] scope:SCOPE_SYS
	s_or_b32 s62, s62, exec_lo
	s_or_b32 s61, s61, exec_lo
                                        ; implicit-def: $vgpr3
	s_wait_xcnt 0x0
	s_and_saveexec_b32 s72, vcc_lo
	s_cbranch_execz .LBB2_683
; %bb.685:                              ;   in Loop: Header=BB2_684 Depth=3
	s_cmp_lt_i32 s63, 0x270f
	s_mov_b32 s73, -1
	s_cselect_b32 s75, -1, 0
	s_cmp_gt_i32 s63, 0x270e
	s_cbranch_scc0 .LBB2_687
; %bb.686:                              ;   in Loop: Header=BB2_684 Depth=3
	s_trap 2
	ds_load_b64 v[112:113], v0
	s_and_not1_b32 s63, s75, exec_lo
	s_mov_b32 s74, 0
	s_wait_storecnt 0x0
	s_wait_loadcnt_dscnt 0x0
	flat_load_b32 v3, v[112:113] scope:SCOPE_SYS
	s_wait_loadcnt_dscnt 0x0
	global_inv scope:SCOPE_SYS
	v_cmp_eq_u32_e64 s13, 0, v3
	s_and_b32 s13, s13, exec_lo
	s_delay_alu instid0(SALU_CYCLE_1)
	s_or_b32 s75, s63, s13
	s_mov_b32 s63, 0
	s_and_saveexec_b32 s76, s75
	s_cbranch_execz .LBB2_682
	s_branch .LBB2_681
.LBB2_687:                              ;   in Loop: Header=BB2_684 Depth=3
	s_add_co_i32 s63, s63, 1
	s_mov_b32 s74, -1
                                        ; implicit-def: $vgpr3
	s_and_saveexec_b32 s76, s75
	s_cbranch_execz .LBB2_682
	s_branch .LBB2_681
.LBB2_688:                              ;   in Loop: Header=BB2_678 Depth=2
	s_or_b32 exec_lo, exec_lo, s29
	s_xor_b32 s13, s60, -1
	s_delay_alu instid0(SALU_CYCLE_1) | instskip(NEXT) | instid1(SALU_CYCLE_1)
	s_and_saveexec_b32 s29, s13
	s_xor_b32 s13, exec_lo, s29
	s_cbranch_execz .LBB2_690
; %bb.689:                              ;   in Loop: Header=BB2_678 Depth=2
	v_or_b32_e32 v30, 64, v30
	s_wait_storecnt 0x0
	s_wait_loadcnt_dscnt 0x0
	ds_store_b32 v0, v3
	s_trap 2
.LBB2_690:                              ;   in Loop: Header=BB2_678 Depth=2
	s_or_b32 exec_lo, exec_lo, s13
.LBB2_691:                              ;   in Loop: Header=BB2_678 Depth=2
	s_delay_alu instid0(SALU_CYCLE_1) | instskip(SKIP_3) | instid1(VALU_DEP_1)
	s_or_b32 exec_lo, exec_lo, s20
	v_and_b32_e32 v3, 0x108, v30
	s_mov_b32 s13, exec_lo
	;;#ASMSTART
	s_wakeup
	;;#ASMEND
                                        ; implicit-def: $vgpr112_vgpr113
	v_cmpx_ne_u32_e32 0x108, v3
	s_xor_b32 s13, exec_lo, s13
; %bb.692:                              ;   in Loop: Header=BB2_678 Depth=2
	v_dual_mov_b32 v113, v2 :: v_dual_bitop2_b32 v112, 7, v86 bitop3:0x40
                                        ; implicit-def: $vgpr86_vgpr87
; %bb.693:                              ;   in Loop: Header=BB2_678 Depth=2
	s_and_not1_saveexec_b32 s13, s13
	s_cbranch_execz .LBB2_695
; %bb.694:                              ;   in Loop: Header=BB2_678 Depth=2
	v_dual_ashrrev_i32 v101, 31, v100 :: v_dual_bitop2_b32 v112, 7, v86 bitop3:0x40
	v_mov_b32_e32 v113, v2
	s_delay_alu instid0(VALU_DEP_2) | instskip(NEXT) | instid1(VALU_DEP_3)
	v_mad_nc_u64_u32 v[86:87], v112, 24, v[6:7]
	v_lshlrev_b64_e32 v[114:115], 2, v[100:101]
	flat_store_b64 v[86:87], v[114:115] offset:8
.LBB2_695:                              ;   in Loop: Header=BB2_678 Depth=2
	s_wait_xcnt 0x0
	s_or_b32 exec_lo, exec_lo, s13
	v_and_b32_e32 v3, 0x100, v30
	s_mov_b32 s13, -1
	s_mov_b32 s20, exec_lo
                                        ; implicit-def: $vgpr86_vgpr87
	s_delay_alu instid0(VALU_DEP_1)
	v_cmpx_ne_u32_e32 0, v3
	s_cbranch_execz .LBB2_699
; %bb.696:                              ;   in Loop: Header=BB2_678 Depth=2
	v_mad_nc_u64_u32 v[114:115], v112, 24, v[6:7]
	s_mov_b32 s29, exec_lo
                                        ; implicit-def: $vgpr86_vgpr87
	s_delay_alu instid0(VALU_DEP_1)
	v_mad_u32 v115, v113, 24, v115
	flat_load_b32 v3, v[114:115]
	s_wait_loadcnt_dscnt 0x0
	v_cmp_ne_u32_e32 vcc_lo, 1, v3
	s_wait_xcnt 0x0
	v_cmpx_eq_u32_e32 1, v3
	s_cbranch_execz .LBB2_698
; %bb.697:                              ;   in Loop: Header=BB2_678 Depth=2
	flat_load_b32 v86, v[114:115] offset:4 scope:SCOPE_SYS
	s_wait_loadcnt_dscnt 0x0
	v_ashrrev_i32_e32 v87, 31, v86
	s_delay_alu instid0(VALU_DEP_1)
	v_lshrrev_b64 v[86:87], 2, v[86:87]
.LBB2_698:                              ;   in Loop: Header=BB2_678 Depth=2
	s_wait_xcnt 0x0
	s_or_b32 exec_lo, exec_lo, s29
	s_delay_alu instid0(SALU_CYCLE_1)
	s_or_not1_b32 s13, vcc_lo, exec_lo
.LBB2_699:                              ;   in Loop: Header=BB2_678 Depth=2
	s_or_b32 exec_lo, exec_lo, s20
	s_and_saveexec_b32 s20, s13
; %bb.700:                              ;   in Loop: Header=BB2_678 Depth=2
	v_mul_u64_e32 v[86:87], v[112:113], v[22:23]
; %bb.701:                              ;   in Loop: Header=BB2_678 Depth=2
	s_or_b32 exec_lo, exec_lo, s20
	v_cmp_eq_u32_e32 vcc_lo, 0, v10
	v_and_b32_e32 v101, 0x2000, v30
	s_delay_alu instid0(VALU_DEP_3) | instskip(SKIP_2) | instid1(VALU_DEP_1)
	v_lshl_add_u64 v[10:11], v[86:87], 2, v[24:25]
	s_mov_b32 s13, exec_lo
	v_cndmask_b32_e32 v3, 0xd0, v60, vcc_lo
	v_add_nc_u32_e32 v3, v0, v3
	ds_store_b64 v3, v[10:11] offset:584
	v_cmpx_ne_u32_e32 0, v101
	s_cbranch_execz .LBB2_703
; %bb.702:                              ;   in Loop: Header=BB2_678 Depth=2
	ds_load_b64 v[10:11], v0 offset:872
	s_wait_dscnt 0x0
	v_add_nc_u64_e32 v[10:11], 1, v[10:11]
	ds_store_b64 v0, v[10:11] offset:872
.LBB2_703:                              ;   in Loop: Header=BB2_678 Depth=2
	s_or_b32 exec_lo, exec_lo, s13
	v_mov_b64_e32 v[86:87], v[8:9]
.LBB2_704:                              ;   in Loop: Header=BB2_678 Depth=2
	s_or_b32 exec_lo, exec_lo, s17
	s_xor_b32 s13, s16, -1
	s_delay_alu instid0(SALU_CYCLE_1) | instskip(NEXT) | instid1(SALU_CYCLE_1)
	s_and_b32 s13, exec_lo, s13
	s_or_b32 s15, s13, s15
	s_and_saveexec_b32 s13, s2
	s_cbranch_execz .LBB2_723
; %bb.705:                              ;   in Loop: Header=BB2_678 Depth=2
	s_and_saveexec_b32 s16, s3
	s_delay_alu instid0(SALU_CYCLE_1)
	s_xor_b32 s16, exec_lo, s16
	s_cbranch_execz .LBB2_720
; %bb.706:                              ;   in Loop: Header=BB2_678 Depth=2
	s_and_saveexec_b32 s17, s6
	s_cbranch_execz .LBB2_719
; %bb.707:                              ;   in Loop: Header=BB2_678 Depth=2
	s_mov_b32 s29, exec_lo
	s_mov_b32 s20, exec_lo
	v_mbcnt_lo_u32_b32 v3, s29, 0
	global_wb scope:SCOPE_DEV
	s_wait_storecnt 0x0
	s_wait_loadcnt_dscnt 0x0
	global_inv scope:SCOPE_DEV
	v_cmpx_eq_u32_e32 0, v3
	s_cbranch_execz .LBB2_709
; %bb.708:                              ;   in Loop: Header=BB2_678 Depth=2
	s_bcnt1_i32_b32 s29, s29
	s_delay_alu instid0(SALU_CYCLE_1)
	v_dual_mov_b32 v9, v2 :: v_dual_mov_b32 v8, s29
	s_wait_loadcnt 0x0
	ds_add_u64 v0, v[8:9]
	s_trap 2
.LBB2_709:                              ;   in Loop: Header=BB2_678 Depth=2
	s_or_b32 exec_lo, exec_lo, s20
	s_trap 2
	ds_load_b64 v[8:9], v0
	s_wait_dscnt 0x0
	v_add_nc_u64_e32 v[12:13], v[12:13], v[32:33]
	s_mov_b32 s20, exec_lo
	s_delay_alu instid0(VALU_DEP_1)
	v_cmpx_lt_u64_e64 v[8:9], v[12:13]
	s_cbranch_execz .LBB2_718
; %bb.710:                              ;   in Loop: Header=BB2_678 Depth=2
	s_mov_b32 s29, 0
	s_mov_b32 s62, 0
                                        ; implicit-def: $sgpr60
                                        ; implicit-def: $sgpr61
	s_branch .LBB2_712
.LBB2_711:                              ;   in Loop: Header=BB2_712 Depth=3
	s_or_b32 exec_lo, exec_lo, s72
	s_delay_alu instid0(SALU_CYCLE_1) | instskip(NEXT) | instid1(SALU_CYCLE_1)
	s_and_b32 s63, exec_lo, s73
	s_or_b32 s29, s63, s29
	s_and_not1_b32 s60, s60, exec_lo
	s_and_b32 s63, s61, exec_lo
	s_delay_alu instid0(SALU_CYCLE_1)
	s_or_b32 s60, s60, s63
	s_and_not1_b32 exec_lo, exec_lo, s29
	s_cbranch_execz .LBB2_716
.LBB2_712:                              ;   Parent Loop BB2_47 Depth=1
                                        ;     Parent Loop BB2_678 Depth=2
                                        ; =>    This Inner Loop Header: Depth=3
	s_add_co_i32 s62, s62, 1
	s_delay_alu instid0(SALU_CYCLE_1) | instskip(SKIP_1) | instid1(SALU_CYCLE_1)
	s_cmp_lg_u32 s62, 0x2710
	s_cselect_b32 s63, -1, 0
	s_and_b32 vcc_lo, exec_lo, s63
	s_cbranch_vccz .LBB2_714
; %bb.713:                              ;   in Loop: Header=BB2_712 Depth=3
	s_mov_b32 s73, -1
	s_or_b32 s61, s61, exec_lo
	s_and_saveexec_b32 s72, s63
	s_cbranch_execz .LBB2_711
	s_branch .LBB2_715
.LBB2_714:                              ;   in Loop: Header=BB2_712 Depth=3
	s_trap 2
	ds_load_b64 v[8:9], v0
	s_and_not1_b32 s63, s63, exec_lo
	s_mov_b32 s62, 0
	s_wait_loadcnt_dscnt 0x0
	flat_load_b32 v3, v[8:9] scope:SCOPE_SYS
	s_wait_loadcnt_dscnt 0x0
	global_inv scope:SCOPE_SYS
	v_cmp_eq_u32_e32 vcc_lo, 0, v3
	s_and_b32 s72, vcc_lo, exec_lo
	s_delay_alu instid0(SALU_CYCLE_1)
	s_or_b32 s63, s63, s72
	s_mov_b32 s73, -1
	s_or_b32 s61, s61, exec_lo
	s_and_saveexec_b32 s72, s63
	s_cbranch_execz .LBB2_711
.LBB2_715:                              ;   in Loop: Header=BB2_712 Depth=3
	s_sleep 1
	s_trap 2
	ds_load_b64 v[8:9], v0
	s_wait_dscnt 0x0
	s_and_not1_b32 s61, s61, exec_lo
	v_cmp_ge_u64_e32 vcc_lo, v[8:9], v[12:13]
	s_or_not1_b32 s73, vcc_lo, exec_lo
	s_branch .LBB2_711
.LBB2_716:                              ;   in Loop: Header=BB2_678 Depth=2
	s_or_b32 exec_lo, exec_lo, s29
	s_and_saveexec_b32 s29, s60
	s_delay_alu instid0(SALU_CYCLE_1)
	s_xor_b32 s29, exec_lo, s29
	s_cbranch_execz .LBB2_718
; %bb.717:                              ;   in Loop: Header=BB2_678 Depth=2
	ds_store_b32 v0, v59
	s_trap 2
.LBB2_718:                              ;   in Loop: Header=BB2_678 Depth=2
	s_or_b32 exec_lo, exec_lo, s20
	;;#ASMSTART
	s_wakeup
	;;#ASMEND
.LBB2_719:                              ;   in Loop: Header=BB2_678 Depth=2
	s_or_b32 exec_lo, exec_lo, s17
.LBB2_720:                              ;   in Loop: Header=BB2_678 Depth=2
	s_and_not1_saveexec_b32 s16, s16
	s_cbranch_execz .LBB2_722
; %bb.721:                              ;   in Loop: Header=BB2_678 Depth=2
	global_wb scope:SCOPE_DEV
	s_wait_storecnt 0x0
	s_wait_loadcnt_dscnt 0x0
	global_inv scope:SCOPE_DEV
	s_barrier_signal -1
	s_barrier_wait -1
.LBB2_722:                              ;   in Loop: Header=BB2_678 Depth=2
	s_or_b32 exec_lo, exec_lo, s16
.LBB2_723:                              ;   in Loop: Header=BB2_678 Depth=2
	s_delay_alu instid0(SALU_CYCLE_1) | instskip(SKIP_2) | instid1(SALU_CYCLE_1)
	s_or_b32 exec_lo, exec_lo, s13
	v_and_b32_e32 v3, 16, v30
	s_and_saveexec_b32 s13, s12
	s_xor_b32 s16, exec_lo, s13
	s_cbranch_execz .LBB2_727
; %bb.724:                              ;   in Loop: Header=BB2_678 Depth=2
	s_trap 2
	ds_load_b32 v3, v0
	v_cmp_lt_i32_e32 vcc_lo, 0, v100
	s_wait_dscnt 0x0
	v_readfirstlane_b32 s13, v3
	v_and_b32_e32 v3, 16, v30
	s_cmp_eq_u32 s13, 0
	s_delay_alu instid0(VALU_DEP_1) | instskip(SKIP_3) | instid1(SALU_CYCLE_1)
	v_cmp_ne_u32_e64 s13, 0, v3
	s_cselect_b32 s17, -1, 0
	v_and_b32_e32 v3, 16, v30
	s_and_b32 s17, vcc_lo, s17
	s_and_b32 s17, s13, s17
	s_delay_alu instid0(SALU_CYCLE_1)
	s_and_saveexec_b32 s13, s17
	s_cbranch_execz .LBB2_726
; %bb.725:                              ;   in Loop: Header=BB2_678 Depth=2
	v_mov_b32_e32 v3, 1
	global_wb scope:SCOPE_SYS
	s_wait_loadcnt 0x0
	s_wait_storecnt 0x0
	global_inv scope:SCOPE_SYS
.LBB2_726:                              ;   in Loop: Header=BB2_678 Depth=2
	s_or_b32 exec_lo, exec_lo, s13
.LBB2_727:                              ;   in Loop: Header=BB2_678 Depth=2
	s_and_not1_saveexec_b32 s13, s16
	s_cbranch_execz .LBB2_746
; %bb.728:                              ;   in Loop: Header=BB2_678 Depth=2
	s_and_saveexec_b32 s16, s3
	s_delay_alu instid0(SALU_CYCLE_1)
	s_xor_b32 s16, exec_lo, s16
	s_cbranch_execz .LBB2_743
; %bb.729:                              ;   in Loop: Header=BB2_678 Depth=2
	s_and_saveexec_b32 s17, s6
	s_cbranch_execz .LBB2_742
; %bb.730:                              ;   in Loop: Header=BB2_678 Depth=2
	s_mov_b32 s29, exec_lo
	s_mov_b32 s20, exec_lo
	v_mbcnt_lo_u32_b32 v8, s29, 0
	;;#ASMSTART
	s_waitcnt lgkmcnt(0) vmcnt(0)
	;;#ASMEND
	s_delay_alu instid0(VALU_DEP_1)
	v_cmpx_eq_u32_e32 0, v8
	s_cbranch_execz .LBB2_732
; %bb.731:                              ;   in Loop: Header=BB2_678 Depth=2
	s_bcnt1_i32_b32 s29, s29
	s_delay_alu instid0(SALU_CYCLE_1)
	v_dual_mov_b32 v9, v2 :: v_dual_mov_b32 v8, s29
	s_wait_storecnt 0x0
	s_wait_loadcnt_dscnt 0x0
	ds_add_u64 v0, v[8:9]
	s_trap 2
.LBB2_732:                              ;   in Loop: Header=BB2_678 Depth=2
	s_or_b32 exec_lo, exec_lo, s20
	s_trap 2
	ds_load_b64 v[8:9], v0
	s_wait_dscnt 0x0
	v_add_nc_u64_e32 v[12:13], v[12:13], v[32:33]
	s_mov_b32 s20, exec_lo
	s_delay_alu instid0(VALU_DEP_1)
	v_cmpx_lt_u64_e64 v[8:9], v[12:13]
	s_cbranch_execz .LBB2_741
; %bb.733:                              ;   in Loop: Header=BB2_678 Depth=2
	s_mov_b32 s29, 0
	s_mov_b32 s62, 0
                                        ; implicit-def: $sgpr60
                                        ; implicit-def: $sgpr61
	s_branch .LBB2_735
.LBB2_734:                              ;   in Loop: Header=BB2_735 Depth=3
	s_or_b32 exec_lo, exec_lo, s72
	s_delay_alu instid0(SALU_CYCLE_1) | instskip(NEXT) | instid1(SALU_CYCLE_1)
	s_and_b32 s63, exec_lo, s73
	s_or_b32 s29, s63, s29
	s_and_not1_b32 s60, s60, exec_lo
	s_and_b32 s63, s61, exec_lo
	s_delay_alu instid0(SALU_CYCLE_1)
	s_or_b32 s60, s60, s63
	s_and_not1_b32 exec_lo, exec_lo, s29
	s_cbranch_execz .LBB2_739
.LBB2_735:                              ;   Parent Loop BB2_47 Depth=1
                                        ;     Parent Loop BB2_678 Depth=2
                                        ; =>    This Inner Loop Header: Depth=3
	s_add_co_i32 s62, s62, 1
	s_delay_alu instid0(SALU_CYCLE_1) | instskip(SKIP_1) | instid1(SALU_CYCLE_1)
	s_cmp_lg_u32 s62, 0x2710
	s_cselect_b32 s63, -1, 0
	s_and_b32 vcc_lo, exec_lo, s63
	s_cbranch_vccz .LBB2_737
; %bb.736:                              ;   in Loop: Header=BB2_735 Depth=3
	s_mov_b32 s73, -1
	s_or_b32 s61, s61, exec_lo
	s_and_saveexec_b32 s72, s63
	s_cbranch_execz .LBB2_734
	s_branch .LBB2_738
.LBB2_737:                              ;   in Loop: Header=BB2_735 Depth=3
	s_trap 2
	ds_load_b64 v[8:9], v0
	s_and_not1_b32 s63, s63, exec_lo
	s_mov_b32 s62, 0
	s_wait_storecnt 0x0
	s_wait_loadcnt_dscnt 0x0
	flat_load_b32 v8, v[8:9] scope:SCOPE_SYS
	s_wait_loadcnt_dscnt 0x0
	global_inv scope:SCOPE_SYS
	v_cmp_eq_u32_e32 vcc_lo, 0, v8
	s_and_b32 s72, vcc_lo, exec_lo
	s_delay_alu instid0(SALU_CYCLE_1)
	s_or_b32 s63, s63, s72
	s_mov_b32 s73, -1
	s_or_b32 s61, s61, exec_lo
	s_and_saveexec_b32 s72, s63
	s_cbranch_execz .LBB2_734
.LBB2_738:                              ;   in Loop: Header=BB2_735 Depth=3
	s_sleep 1
	s_trap 2
	ds_load_b64 v[8:9], v0
	s_wait_dscnt 0x0
	s_and_not1_b32 s61, s61, exec_lo
	v_cmp_ge_u64_e32 vcc_lo, v[8:9], v[12:13]
	s_or_not1_b32 s73, vcc_lo, exec_lo
	s_branch .LBB2_734
.LBB2_739:                              ;   in Loop: Header=BB2_678 Depth=2
	s_or_b32 exec_lo, exec_lo, s29
	s_and_saveexec_b32 s29, s60
	s_delay_alu instid0(SALU_CYCLE_1)
	s_xor_b32 s29, exec_lo, s29
	s_cbranch_execz .LBB2_741
; %bb.740:                              ;   in Loop: Header=BB2_678 Depth=2
	ds_store_b32 v0, v59
	s_trap 2
.LBB2_741:                              ;   in Loop: Header=BB2_678 Depth=2
	s_or_b32 exec_lo, exec_lo, s20
	;;#ASMSTART
	s_wakeup
	;;#ASMEND
.LBB2_742:                              ;   in Loop: Header=BB2_678 Depth=2
	s_or_b32 exec_lo, exec_lo, s17
.LBB2_743:                              ;   in Loop: Header=BB2_678 Depth=2
	s_and_not1_saveexec_b32 s16, s16
	s_cbranch_execz .LBB2_745
; %bb.744:                              ;   in Loop: Header=BB2_678 Depth=2
	;;#ASMSTART
	s_waitcnt lgkmcnt(0) vmcnt(0)
	;;#ASMEND
	s_barrier_signal -1
	s_barrier_wait -1
.LBB2_745:                              ;   in Loop: Header=BB2_678 Depth=2
	s_or_b32 exec_lo, exec_lo, s16
.LBB2_746:                              ;   in Loop: Header=BB2_678 Depth=2
	s_delay_alu instid0(SALU_CYCLE_1) | instskip(SKIP_2) | instid1(SALU_CYCLE_1)
	s_or_b32 exec_lo, exec_lo, s13
	v_cmp_ne_u32_e32 vcc_lo, 0, v3
	s_xor_b32 s13, s4, -1
	s_and_b32 s16, vcc_lo, s13
	s_delay_alu instid0(SALU_CYCLE_1)
	s_and_saveexec_b32 s13, s16
	s_cbranch_execz .LBB2_748
; %bb.747:                              ;   in Loop: Header=BB2_678 Depth=2
	global_wb scope:SCOPE_SYS
	s_wait_storecnt 0x0
	s_wait_loadcnt_dscnt 0x0
	flat_store_b32 v[26:27], v59 scope:SCOPE_SYS
.LBB2_748:                              ;   in Loop: Header=BB2_678 Depth=2
	s_wait_xcnt 0x0
	s_or_b32 exec_lo, exec_lo, s13
	v_and_b32_e32 v3, 48, v30
	s_mov_b32 s13, exec_lo
	s_delay_alu instid0(VALU_DEP_1)
	v_cmpx_ne_u32_e32 0, v3
	s_cbranch_execz .LBB2_677
; %bb.749:                              ;   in Loop: Header=BB2_678 Depth=2
	v_add_nc_u64_e32 v[86:87], 2, v[86:87]
	global_wb scope:SCOPE_SYS
	s_wait_storecnt 0x0
	s_wait_loadcnt_dscnt 0x0
	flat_store_b64 v[20:21], v[86:87] scope:SCOPE_SYS
	s_branch .LBB2_677
.LBB2_750:                              ;   in Loop: Header=BB2_47 Depth=1
	s_or_b32 exec_lo, exec_lo, s15
.LBB2_751:                              ;   in Loop: Header=BB2_47 Depth=1
	s_delay_alu instid0(SALU_CYCLE_1) | instskip(NEXT) | instid1(SALU_CYCLE_1)
	s_or_b32 exec_lo, exec_lo, s14
	s_and_not1_b32 vcc_lo, exec_lo, s46
	s_cbranch_vccnz .LBB2_1010
; %bb.752:                              ;   in Loop: Header=BB2_47 Depth=1
	s_mov_b32 s20, 1
.LBB2_753:                              ;   Parent Loop BB2_47 Depth=1
                                        ; =>  This Loop Header: Depth=2
                                        ;       Child Loop BB2_756 Depth 3
                                        ;         Child Loop BB2_764 Depth 4
                                        ;         Child Loop BB2_792 Depth 4
	;; [unrolled: 1-line block ×4, first 2 shown]
                                        ;           Child Loop BB2_835 Depth 5
                                        ;         Child Loop BB2_841 Depth 4
                                        ;           Child Loop BB2_842 Depth 5
                                        ;         Child Loop BB2_849 Depth 4
                                        ;         Child Loop BB2_854 Depth 4
                                        ;           Child Loop BB2_855 Depth 5
                                        ;         Child Loop BB2_867 Depth 4
                                        ;         Child Loop BB2_872 Depth 4
                                        ;         Child Loop BB2_878 Depth 4
                                        ;         Child Loop BB2_883 Depth 4
                                        ;         Child Loop BB2_893 Depth 4
                                        ;         Child Loop BB2_916 Depth 4
                                        ;       Child Loop BB2_935 Depth 3
                                        ;         Child Loop BB2_941 Depth 4
                                        ;         Child Loop BB2_969 Depth 4
	;; [unrolled: 1-line block ×3, first 2 shown]
	s_delay_alu instid0(SALU_CYCLE_1) | instskip(SKIP_4) | instid1(SALU_CYCLE_1)
	s_sub_co_i32 s13, s44, s20
	s_mov_b32 s60, 0
	s_cmp_ge_i32 s13, s18
	v_mov_b32_e32 v102, 0
	s_cselect_b32 s14, s18, 0
	s_sub_co_i32 s14, s13, s14
	s_delay_alu instid0(SALU_CYCLE_1) | instskip(NEXT) | instid1(SALU_CYCLE_1)
	s_ashr_i32 s15, s14, 31
	v_mul_u64_e32 v[8:9], s[14:15], v[84:85]
	s_delay_alu instid0(VALU_DEP_1) | instskip(NEXT) | instid1(VALU_DEP_1)
	v_sub_nc_u64_e32 v[10:11], v[96:97], v[8:9]
	v_min_i64 v[100:101], v[84:85], v[10:11]
	s_delay_alu instid0(VALU_DEP_1) | instskip(SKIP_1) | instid1(VALU_DEP_2)
	v_max_i32_e32 v3, 0, v100
	v_cmp_lt_i32_e32 vcc_lo, 0, v100
	v_add_nc_u32_e32 v10, 31, v3
	s_and_b32 s13, s57, vcc_lo
	s_delay_alu instid0(VALU_DEP_1) | instskip(NEXT) | instid1(VALU_DEP_1)
	v_lshrrev_b32_e32 v10, 1, v10
	v_and_b32_e32 v11, 0x3ffffff0, v10
	s_delay_alu instid0(VALU_DEP_1)
	v_dual_mov_b32 v10, 0 :: v_dual_max_i32 v100, s45, v11
	s_and_saveexec_b32 s29, s13
	s_cbranch_execz .LBB2_932
; %bb.754:                              ;   in Loop: Header=BB2_753 Depth=2
	v_add_nc_u64_e32 v[8:9], v[8:9], v[98:99]
	v_mov_b32_e32 v102, 0
	s_mov_b32 s62, 1
	s_mov_b32 s61, -1
	s_delay_alu instid0(VALU_DEP_2)
	v_lshlrev_b64_e32 v[112:113], 2, v[8:9]
	s_branch .LBB2_756
.LBB2_755:                              ;   in Loop: Header=BB2_756 Depth=3
	s_wait_xcnt 0x0
	s_or_b32 exec_lo, exec_lo, s13
	v_dual_add_nc_u32 v102, v100, v102 :: v_dual_mov_b32 v10, s62
	s_xor_b32 s13, s61, -1
	s_mov_b32 s61, 0
	s_mov_b32 s62, 2
	s_delay_alu instid0(VALU_DEP_1) | instskip(SKIP_1) | instid1(SALU_CYCLE_1)
	v_cmp_ge_i32_e32 vcc_lo, v102, v3
	s_or_b32 s13, s13, vcc_lo
	s_and_b32 s13, exec_lo, s13
	s_delay_alu instid0(SALU_CYCLE_1) | instskip(NEXT) | instid1(SALU_CYCLE_1)
	s_or_b32 s60, s13, s60
	s_and_not1_b32 exec_lo, exec_lo, s60
	s_cbranch_execz .LBB2_931
.LBB2_756:                              ;   Parent Loop BB2_47 Depth=1
                                        ;     Parent Loop BB2_753 Depth=2
                                        ; =>    This Loop Header: Depth=3
                                        ;         Child Loop BB2_764 Depth 4
                                        ;         Child Loop BB2_792 Depth 4
	;; [unrolled: 1-line block ×4, first 2 shown]
                                        ;           Child Loop BB2_835 Depth 5
                                        ;         Child Loop BB2_841 Depth 4
                                        ;           Child Loop BB2_842 Depth 5
                                        ;         Child Loop BB2_849 Depth 4
                                        ;         Child Loop BB2_854 Depth 4
                                        ;           Child Loop BB2_855 Depth 5
                                        ;         Child Loop BB2_867 Depth 4
                                        ;         Child Loop BB2_872 Depth 4
	;; [unrolled: 1-line block ×6, first 2 shown]
	s_and_saveexec_b32 s13, s0
	s_cbranch_execz .LBB2_758
; %bb.757:                              ;   in Loop: Header=BB2_756 Depth=3
	s_trap 2
	ds_load_b128 v[8:11], v0
	s_wait_dscnt 0x0
	v_cmp_ne_u64_e32 vcc_lo, 0, v[10:11]
	v_ashrrev_i32_e32 v103, 31, v102
	v_add_nc_u64_e32 v[116:117], v[10:11], v[112:113]
	v_add_nc_u64_e32 v[8:9], v[8:9], v[112:113]
	s_delay_alu instid0(VALU_DEP_3) | instskip(NEXT) | instid1(VALU_DEP_1)
	v_lshlrev_b64_e32 v[114:115], 2, v[102:103]
	v_add_nc_u64_e32 v[116:117], v[116:117], v[114:115]
	s_delay_alu instid0(VALU_DEP_3) | instskip(NEXT) | instid1(VALU_DEP_2)
	v_add_nc_u64_e32 v[8:9], v[8:9], v[114:115]
	v_dual_cndmask_b32 v11, 0, v117 :: v_dual_cndmask_b32 v10, 0, v116
	ds_store_b64 v0, v[8:9]
	ds_store_b64 v0, v[10:11]
.LBB2_758:                              ;   in Loop: Header=BB2_756 Depth=3
	s_or_b32 exec_lo, exec_lo, s13
	v_sub_nc_u32_e32 v8, v3, v102
	v_and_b32_e32 v9, 12, v30
	s_mov_b32 s14, exec_lo
	s_delay_alu instid0(VALU_DEP_2) | instskip(NEXT) | instid1(VALU_DEP_2)
	v_min_i32_e32 v100, v100, v8
	v_cmpx_ne_u32_e32 0, v9
	s_cbranch_execz .LBB2_784
; %bb.759:                              ;   in Loop: Header=BB2_756 Depth=3
	v_dual_mov_b32 v11, v2 :: v_dual_bitop2_b32 v10, 8, v30 bitop3:0x40
	v_add_nc_u64_e32 v[8:9], 2, v[86:87]
	s_mov_b32 s15, exec_lo
	s_wait_loadcnt_dscnt 0x1
	s_delay_alu instid0(VALU_DEP_2) | instskip(NEXT) | instid1(VALU_DEP_1)
	v_add_nc_u64_e32 v[114:115], v[28:29], v[10:11]
	v_cmpx_lt_u64_e64 v[114:115], v[8:9]
	s_cbranch_execz .LBB2_771
; %bb.760:                              ;   in Loop: Header=BB2_756 Depth=3
	v_and_b32_e32 v28, 64, v30
	s_mov_b32 s16, 0
	s_mov_b32 s73, 0
                                        ; implicit-def: $sgpr17
                                        ; implicit-def: $sgpr63
                                        ; implicit-def: $sgpr72
	s_delay_alu instid0(VALU_DEP_1)
	v_cmp_eq_u32_e32 vcc_lo, 0, v28
	s_branch .LBB2_764
.LBB2_761:                              ;   in Loop: Header=BB2_764 Depth=4
	s_wait_loadcnt_dscnt 0x0
	v_add_nc_u64_e32 v[114:115], v[28:29], v[10:11]
	s_or_b32 s76, s76, exec_lo
	s_delay_alu instid0(VALU_DEP_1)
	v_cmp_ge_u64_e64 s13, v[114:115], v[8:9]
	s_or_not1_b32 s75, s13, exec_lo
.LBB2_762:                              ;   in Loop: Header=BB2_764 Depth=4
	s_or_b32 exec_lo, exec_lo, s78
	s_delay_alu instid0(SALU_CYCLE_1)
	s_and_not1_b32 s13, s72, exec_lo
	s_and_b32 s72, s76, exec_lo
	s_and_not1_b32 s63, s63, exec_lo
	s_and_b32 s75, s75, exec_lo
	s_or_b32 s72, s13, s72
	s_or_b32 s63, s63, s75
.LBB2_763:                              ;   in Loop: Header=BB2_764 Depth=4
	s_or_b32 exec_lo, exec_lo, s74
	s_delay_alu instid0(SALU_CYCLE_1) | instskip(NEXT) | instid1(SALU_CYCLE_1)
	s_and_b32 s13, exec_lo, s63
	s_or_b32 s16, s13, s16
	s_and_not1_b32 s13, s17, exec_lo
	s_and_b32 s17, s72, exec_lo
	s_delay_alu instid0(SALU_CYCLE_1)
	s_or_b32 s17, s13, s17
	s_and_not1_b32 exec_lo, exec_lo, s16
	s_cbranch_execz .LBB2_768
.LBB2_764:                              ;   Parent Loop BB2_47 Depth=1
                                        ;     Parent Loop BB2_753 Depth=2
                                        ;       Parent Loop BB2_756 Depth=3
                                        ; =>      This Inner Loop Header: Depth=4
	s_sleep 1
	s_wait_loadcnt_dscnt 0x0
	flat_load_b64 v[28:29], v[20:21] scope:SCOPE_SYS
	s_or_b32 s72, s72, exec_lo
	s_or_b32 s63, s63, exec_lo
                                        ; implicit-def: $vgpr87
	s_wait_xcnt 0x0
	s_and_saveexec_b32 s74, vcc_lo
	s_cbranch_execz .LBB2_763
; %bb.765:                              ;   in Loop: Header=BB2_764 Depth=4
	s_cmp_lt_i32 s73, 0x270f
	s_mov_b32 s75, -1
	s_cselect_b32 s77, -1, 0
	s_cmp_gt_i32 s73, 0x270e
	s_cbranch_scc0 .LBB2_767
; %bb.766:                              ;   in Loop: Header=BB2_764 Depth=4
	s_trap 2
	ds_load_b64 v[114:115], v0
	s_and_not1_b32 s73, s77, exec_lo
	s_mov_b32 s76, 0
	s_wait_storecnt 0x0
	s_wait_loadcnt_dscnt 0x0
	flat_load_b32 v87, v[114:115] scope:SCOPE_SYS
	s_wait_loadcnt_dscnt 0x0
	global_inv scope:SCOPE_SYS
	v_cmp_eq_u32_e64 s13, 0, v87
	s_and_b32 s13, s13, exec_lo
	s_delay_alu instid0(SALU_CYCLE_1)
	s_or_b32 s77, s73, s13
	s_mov_b32 s73, 0
	s_and_saveexec_b32 s78, s77
	s_cbranch_execz .LBB2_762
	s_branch .LBB2_761
.LBB2_767:                              ;   in Loop: Header=BB2_764 Depth=4
	s_add_co_i32 s73, s73, 1
	s_mov_b32 s76, -1
                                        ; implicit-def: $vgpr87
	s_and_saveexec_b32 s78, s77
	s_cbranch_execz .LBB2_762
	s_branch .LBB2_761
.LBB2_768:                              ;   in Loop: Header=BB2_756 Depth=3
	s_or_b32 exec_lo, exec_lo, s16
	s_xor_b32 s13, s17, -1
	s_delay_alu instid0(SALU_CYCLE_1) | instskip(NEXT) | instid1(SALU_CYCLE_1)
	s_and_saveexec_b32 s16, s13
	s_xor_b32 s13, exec_lo, s16
	s_cbranch_execz .LBB2_770
; %bb.769:                              ;   in Loop: Header=BB2_756 Depth=3
	v_or_b32_e32 v30, 64, v30
	s_wait_storecnt 0x0
	s_wait_loadcnt_dscnt 0x0
	ds_store_b32 v0, v87
	s_trap 2
.LBB2_770:                              ;   in Loop: Header=BB2_756 Depth=3
	s_or_b32 exec_lo, exec_lo, s13
.LBB2_771:                              ;   in Loop: Header=BB2_756 Depth=3
	s_delay_alu instid0(SALU_CYCLE_1) | instskip(SKIP_3) | instid1(VALU_DEP_1)
	s_or_b32 exec_lo, exec_lo, s15
	v_and_b32_e32 v11, 0x108, v30
	s_mov_b32 s13, exec_lo
	;;#ASMSTART
	s_wakeup
	;;#ASMEND
                                        ; implicit-def: $vgpr114_vgpr115
	v_cmpx_ne_u32_e32 0x108, v11
	s_xor_b32 s13, exec_lo, s13
; %bb.772:                              ;   in Loop: Header=BB2_756 Depth=3
	v_dual_mov_b32 v115, v2 :: v_dual_bitop2_b32 v114, 7, v86 bitop3:0x40
                                        ; implicit-def: $vgpr86_vgpr87
; %bb.773:                              ;   in Loop: Header=BB2_756 Depth=3
	s_and_not1_saveexec_b32 s13, s13
	s_cbranch_execz .LBB2_775
; %bb.774:                              ;   in Loop: Header=BB2_756 Depth=3
	v_dual_ashrrev_i32 v101, 31, v100 :: v_dual_bitop2_b32 v114, 7, v86 bitop3:0x40
	v_mov_b32_e32 v115, v2
	s_delay_alu instid0(VALU_DEP_2) | instskip(NEXT) | instid1(VALU_DEP_3)
	v_mad_nc_u64_u32 v[86:87], v114, 24, v[6:7]
	v_lshlrev_b64_e32 v[116:117], 2, v[100:101]
	flat_store_b64 v[86:87], v[116:117] offset:8
.LBB2_775:                              ;   in Loop: Header=BB2_756 Depth=3
	s_wait_xcnt 0x0
	s_or_b32 exec_lo, exec_lo, s13
	v_and_b32_e32 v11, 0x100, v30
	s_mov_b32 s13, -1
	s_mov_b32 s15, exec_lo
                                        ; implicit-def: $vgpr86_vgpr87
	s_delay_alu instid0(VALU_DEP_1)
	v_cmpx_ne_u32_e32 0, v11
	s_cbranch_execz .LBB2_779
; %bb.776:                              ;   in Loop: Header=BB2_756 Depth=3
	v_mad_nc_u64_u32 v[116:117], v114, 24, v[6:7]
	s_mov_b32 s16, exec_lo
                                        ; implicit-def: $vgpr86_vgpr87
	s_delay_alu instid0(VALU_DEP_1)
	v_mad_u32 v117, v115, 24, v117
	flat_load_b32 v11, v[116:117]
	s_wait_loadcnt_dscnt 0x0
	v_cmp_ne_u32_e32 vcc_lo, 1, v11
	s_wait_xcnt 0x0
	v_cmpx_eq_u32_e32 1, v11
	s_cbranch_execz .LBB2_778
; %bb.777:                              ;   in Loop: Header=BB2_756 Depth=3
	flat_load_b32 v86, v[116:117] offset:4 scope:SCOPE_SYS
	s_wait_loadcnt_dscnt 0x0
	v_ashrrev_i32_e32 v87, 31, v86
	s_delay_alu instid0(VALU_DEP_1)
	v_lshrrev_b64 v[86:87], 2, v[86:87]
.LBB2_778:                              ;   in Loop: Header=BB2_756 Depth=3
	s_wait_xcnt 0x0
	s_or_b32 exec_lo, exec_lo, s16
	s_delay_alu instid0(SALU_CYCLE_1)
	s_or_not1_b32 s13, vcc_lo, exec_lo
.LBB2_779:                              ;   in Loop: Header=BB2_756 Depth=3
	s_or_b32 exec_lo, exec_lo, s15
	s_and_saveexec_b32 s15, s13
; %bb.780:                              ;   in Loop: Header=BB2_756 Depth=3
	v_mul_u64_e32 v[86:87], v[114:115], v[22:23]
; %bb.781:                              ;   in Loop: Header=BB2_756 Depth=3
	s_or_b32 exec_lo, exec_lo, s15
	v_cmp_eq_u32_e32 vcc_lo, 0, v10
	v_and_b32_e32 v103, 0x2000, v30
	s_delay_alu instid0(VALU_DEP_3) | instskip(SKIP_2) | instid1(VALU_DEP_1)
	v_lshl_add_u64 v[10:11], v[86:87], 2, v[24:25]
	s_mov_b32 s13, exec_lo
	v_cndmask_b32_e32 v101, 0xd0, v61, vcc_lo
	v_add_nc_u32_e32 v86, v0, v101
	ds_store_b64 v86, v[10:11] offset:584
	v_cmpx_ne_u32_e32 0, v103
	s_cbranch_execz .LBB2_783
; %bb.782:                              ;   in Loop: Header=BB2_756 Depth=3
	ds_load_b64 v[10:11], v0 offset:872
	s_wait_dscnt 0x0
	v_add_nc_u64_e32 v[10:11], 1, v[10:11]
	ds_store_b64 v0, v[10:11] offset:872
.LBB2_783:                              ;   in Loop: Header=BB2_756 Depth=3
	s_or_b32 exec_lo, exec_lo, s13
	v_mov_b64_e32 v[86:87], v[8:9]
.LBB2_784:                              ;   in Loop: Header=BB2_756 Depth=3
	s_or_b32 exec_lo, exec_lo, s14
	s_and_saveexec_b32 s13, s2
	s_cbranch_execz .LBB2_803
; %bb.785:                              ;   in Loop: Header=BB2_756 Depth=3
	s_and_saveexec_b32 s14, s3
	s_delay_alu instid0(SALU_CYCLE_1)
	s_xor_b32 s14, exec_lo, s14
	s_cbranch_execz .LBB2_800
; %bb.786:                              ;   in Loop: Header=BB2_756 Depth=3
	s_and_saveexec_b32 s15, s6
	s_cbranch_execz .LBB2_799
; %bb.787:                              ;   in Loop: Header=BB2_756 Depth=3
	s_mov_b32 s17, exec_lo
	s_mov_b32 s16, exec_lo
	v_mbcnt_lo_u32_b32 v8, s17, 0
	global_wb scope:SCOPE_DEV
	s_wait_storecnt 0x0
	s_wait_loadcnt_dscnt 0x0
	global_inv scope:SCOPE_DEV
	v_cmpx_eq_u32_e32 0, v8
	s_cbranch_execz .LBB2_789
; %bb.788:                              ;   in Loop: Header=BB2_756 Depth=3
	s_bcnt1_i32_b32 s17, s17
	s_delay_alu instid0(SALU_CYCLE_1)
	v_dual_mov_b32 v9, v2 :: v_dual_mov_b32 v8, s17
	s_wait_loadcnt 0x0
	ds_add_u64 v0, v[8:9]
	s_trap 2
.LBB2_789:                              ;   in Loop: Header=BB2_756 Depth=3
	s_or_b32 exec_lo, exec_lo, s16
	s_trap 2
	ds_load_b64 v[8:9], v0
	s_wait_dscnt 0x0
	v_add_nc_u64_e32 v[12:13], v[12:13], v[32:33]
	s_mov_b32 s16, exec_lo
	s_delay_alu instid0(VALU_DEP_1)
	v_cmpx_lt_u64_e64 v[8:9], v[12:13]
	s_cbranch_execz .LBB2_798
; %bb.790:                              ;   in Loop: Header=BB2_756 Depth=3
	s_mov_b32 s17, 0
	s_mov_b32 s73, 0
                                        ; implicit-def: $sgpr63
                                        ; implicit-def: $sgpr72
	s_branch .LBB2_792
.LBB2_791:                              ;   in Loop: Header=BB2_792 Depth=4
	s_or_b32 exec_lo, exec_lo, s75
	s_delay_alu instid0(SALU_CYCLE_1) | instskip(NEXT) | instid1(SALU_CYCLE_1)
	s_and_b32 s74, exec_lo, s76
	s_or_b32 s17, s74, s17
	s_and_not1_b32 s63, s63, exec_lo
	s_and_b32 s74, s72, exec_lo
	s_delay_alu instid0(SALU_CYCLE_1)
	s_or_b32 s63, s63, s74
	s_and_not1_b32 exec_lo, exec_lo, s17
	s_cbranch_execz .LBB2_796
.LBB2_792:                              ;   Parent Loop BB2_47 Depth=1
                                        ;     Parent Loop BB2_753 Depth=2
                                        ;       Parent Loop BB2_756 Depth=3
                                        ; =>      This Inner Loop Header: Depth=4
	s_add_co_i32 s73, s73, 1
	s_delay_alu instid0(SALU_CYCLE_1) | instskip(SKIP_1) | instid1(SALU_CYCLE_1)
	s_cmp_lg_u32 s73, 0x2710
	s_cselect_b32 s74, -1, 0
	s_and_b32 vcc_lo, exec_lo, s74
	s_cbranch_vccz .LBB2_794
; %bb.793:                              ;   in Loop: Header=BB2_792 Depth=4
	s_mov_b32 s76, -1
	s_or_b32 s72, s72, exec_lo
	s_and_saveexec_b32 s75, s74
	s_cbranch_execz .LBB2_791
	s_branch .LBB2_795
.LBB2_794:                              ;   in Loop: Header=BB2_792 Depth=4
	s_trap 2
	ds_load_b64 v[8:9], v0
	s_and_not1_b32 s74, s74, exec_lo
	s_mov_b32 s73, 0
	s_wait_loadcnt_dscnt 0x0
	flat_load_b32 v8, v[8:9] scope:SCOPE_SYS
	s_wait_loadcnt_dscnt 0x0
	global_inv scope:SCOPE_SYS
	v_cmp_eq_u32_e32 vcc_lo, 0, v8
	s_and_b32 s75, vcc_lo, exec_lo
	s_delay_alu instid0(SALU_CYCLE_1)
	s_or_b32 s74, s74, s75
	s_mov_b32 s76, -1
	s_or_b32 s72, s72, exec_lo
	s_and_saveexec_b32 s75, s74
	s_cbranch_execz .LBB2_791
.LBB2_795:                              ;   in Loop: Header=BB2_792 Depth=4
	s_sleep 1
	s_trap 2
	ds_load_b64 v[8:9], v0
	s_wait_dscnt 0x0
	s_and_not1_b32 s72, s72, exec_lo
	v_cmp_ge_u64_e32 vcc_lo, v[8:9], v[12:13]
	s_or_not1_b32 s76, vcc_lo, exec_lo
	s_branch .LBB2_791
.LBB2_796:                              ;   in Loop: Header=BB2_756 Depth=3
	s_or_b32 exec_lo, exec_lo, s17
	s_and_saveexec_b32 s17, s63
	s_delay_alu instid0(SALU_CYCLE_1)
	s_xor_b32 s17, exec_lo, s17
	s_cbranch_execz .LBB2_798
; %bb.797:                              ;   in Loop: Header=BB2_756 Depth=3
	ds_store_b32 v0, v59
	s_trap 2
.LBB2_798:                              ;   in Loop: Header=BB2_756 Depth=3
	s_or_b32 exec_lo, exec_lo, s16
	;;#ASMSTART
	s_wakeup
	;;#ASMEND
.LBB2_799:                              ;   in Loop: Header=BB2_756 Depth=3
	s_or_b32 exec_lo, exec_lo, s15
.LBB2_800:                              ;   in Loop: Header=BB2_756 Depth=3
	s_and_not1_saveexec_b32 s14, s14
	s_cbranch_execz .LBB2_802
; %bb.801:                              ;   in Loop: Header=BB2_756 Depth=3
	global_wb scope:SCOPE_DEV
	s_wait_storecnt 0x0
	s_wait_loadcnt_dscnt 0x0
	global_inv scope:SCOPE_DEV
	s_barrier_signal -1
	s_barrier_wait -1
.LBB2_802:                              ;   in Loop: Header=BB2_756 Depth=3
	s_or_b32 exec_lo, exec_lo, s14
.LBB2_803:                              ;   in Loop: Header=BB2_756 Depth=3
	s_delay_alu instid0(SALU_CYCLE_1) | instskip(SKIP_4) | instid1(VALU_DEP_1)
	s_or_b32 exec_lo, exec_lo, s13
	s_trap 2
	ds_load_b32 v8, v0
	v_and_b32_e32 v9, 0x4000, v30
	s_xor_b32 s13, s1, -1
	v_cmp_ne_u32_e32 vcc_lo, 0, v9
	s_and_b32 s14, s13, vcc_lo
	s_delay_alu instid0(SALU_CYCLE_1)
	s_and_saveexec_b32 s13, s14
	s_cbranch_execz .LBB2_822
; %bb.804:                              ;   in Loop: Header=BB2_756 Depth=3
	s_and_saveexec_b32 s14, s3
	s_delay_alu instid0(SALU_CYCLE_1)
	s_xor_b32 s14, exec_lo, s14
	s_cbranch_execz .LBB2_819
; %bb.805:                              ;   in Loop: Header=BB2_756 Depth=3
	s_and_saveexec_b32 s15, s6
	s_cbranch_execz .LBB2_818
; %bb.806:                              ;   in Loop: Header=BB2_756 Depth=3
	s_mov_b32 s17, exec_lo
	s_mov_b32 s16, exec_lo
	v_mbcnt_lo_u32_b32 v9, s17, 0
	global_wb scope:SCOPE_DEV
	s_wait_storecnt 0x0
	s_wait_loadcnt_dscnt 0x0
	global_inv scope:SCOPE_DEV
	v_cmpx_eq_u32_e32 0, v9
	s_cbranch_execz .LBB2_808
; %bb.807:                              ;   in Loop: Header=BB2_756 Depth=3
	s_bcnt1_i32_b32 s17, s17
	s_delay_alu instid0(SALU_CYCLE_1)
	v_dual_mov_b32 v11, v2 :: v_dual_mov_b32 v10, s17
	s_wait_loadcnt 0x0
	ds_add_u64 v0, v[10:11]
	s_trap 2
.LBB2_808:                              ;   in Loop: Header=BB2_756 Depth=3
	s_or_b32 exec_lo, exec_lo, s16
	s_trap 2
	ds_load_b64 v[10:11], v0
	s_wait_dscnt 0x0
	v_add_nc_u64_e32 v[12:13], v[12:13], v[32:33]
	s_mov_b32 s16, exec_lo
	s_delay_alu instid0(VALU_DEP_1)
	v_cmpx_lt_u64_e64 v[10:11], v[12:13]
	s_cbranch_execz .LBB2_817
; %bb.809:                              ;   in Loop: Header=BB2_756 Depth=3
	s_mov_b32 s17, 0
	s_mov_b32 s73, 0
                                        ; implicit-def: $sgpr63
                                        ; implicit-def: $sgpr72
	s_branch .LBB2_811
.LBB2_810:                              ;   in Loop: Header=BB2_811 Depth=4
	s_or_b32 exec_lo, exec_lo, s75
	s_delay_alu instid0(SALU_CYCLE_1) | instskip(NEXT) | instid1(SALU_CYCLE_1)
	s_and_b32 s74, exec_lo, s76
	s_or_b32 s17, s74, s17
	s_and_not1_b32 s63, s63, exec_lo
	s_and_b32 s74, s72, exec_lo
	s_delay_alu instid0(SALU_CYCLE_1)
	s_or_b32 s63, s63, s74
	s_and_not1_b32 exec_lo, exec_lo, s17
	s_cbranch_execz .LBB2_815
.LBB2_811:                              ;   Parent Loop BB2_47 Depth=1
                                        ;     Parent Loop BB2_753 Depth=2
                                        ;       Parent Loop BB2_756 Depth=3
                                        ; =>      This Inner Loop Header: Depth=4
	s_add_co_i32 s73, s73, 1
	s_delay_alu instid0(SALU_CYCLE_1) | instskip(SKIP_1) | instid1(SALU_CYCLE_1)
	s_cmp_lg_u32 s73, 0x2710
	s_cselect_b32 s74, -1, 0
	s_and_b32 vcc_lo, exec_lo, s74
	s_cbranch_vccz .LBB2_813
; %bb.812:                              ;   in Loop: Header=BB2_811 Depth=4
	s_mov_b32 s76, -1
	s_or_b32 s72, s72, exec_lo
	s_and_saveexec_b32 s75, s74
	s_cbranch_execz .LBB2_810
	s_branch .LBB2_814
.LBB2_813:                              ;   in Loop: Header=BB2_811 Depth=4
	s_trap 2
	ds_load_b64 v[10:11], v0
	s_and_not1_b32 s74, s74, exec_lo
	s_mov_b32 s73, 0
	s_wait_loadcnt_dscnt 0x0
	flat_load_b32 v9, v[10:11] scope:SCOPE_SYS
	s_wait_loadcnt_dscnt 0x0
	global_inv scope:SCOPE_SYS
	v_cmp_eq_u32_e32 vcc_lo, 0, v9
	s_and_b32 s75, vcc_lo, exec_lo
	s_delay_alu instid0(SALU_CYCLE_1)
	s_or_b32 s74, s74, s75
	s_mov_b32 s76, -1
	s_or_b32 s72, s72, exec_lo
	s_and_saveexec_b32 s75, s74
	s_cbranch_execz .LBB2_810
.LBB2_814:                              ;   in Loop: Header=BB2_811 Depth=4
	s_sleep 1
	s_trap 2
	ds_load_b64 v[10:11], v0
	s_wait_dscnt 0x0
	s_and_not1_b32 s72, s72, exec_lo
	v_cmp_ge_u64_e32 vcc_lo, v[10:11], v[12:13]
	s_or_not1_b32 s76, vcc_lo, exec_lo
	s_branch .LBB2_810
.LBB2_815:                              ;   in Loop: Header=BB2_756 Depth=3
	s_or_b32 exec_lo, exec_lo, s17
	s_and_saveexec_b32 s17, s63
	s_delay_alu instid0(SALU_CYCLE_1)
	s_xor_b32 s17, exec_lo, s17
	s_cbranch_execz .LBB2_817
; %bb.816:                              ;   in Loop: Header=BB2_756 Depth=3
	ds_store_b32 v0, v59
	s_trap 2
.LBB2_817:                              ;   in Loop: Header=BB2_756 Depth=3
	s_or_b32 exec_lo, exec_lo, s16
	;;#ASMSTART
	s_wakeup
	;;#ASMEND
.LBB2_818:                              ;   in Loop: Header=BB2_756 Depth=3
	s_or_b32 exec_lo, exec_lo, s15
.LBB2_819:                              ;   in Loop: Header=BB2_756 Depth=3
	s_and_not1_saveexec_b32 s14, s14
	s_cbranch_execz .LBB2_821
; %bb.820:                              ;   in Loop: Header=BB2_756 Depth=3
	global_wb scope:SCOPE_DEV
	s_wait_storecnt 0x0
	s_wait_loadcnt_dscnt 0x0
	global_inv scope:SCOPE_DEV
	s_barrier_signal -1
	s_barrier_wait -1
.LBB2_821:                              ;   in Loop: Header=BB2_756 Depth=3
	s_or_b32 exec_lo, exec_lo, s14
.LBB2_822:                              ;   in Loop: Header=BB2_756 Depth=3
	s_delay_alu instid0(SALU_CYCLE_1)
	s_or_b32 exec_lo, exec_lo, s13
	s_trap 2
	ds_load_b64 v[114:115], v0
	s_wait_dscnt 0x0
	v_cmp_eq_u64_e32 vcc_lo, 0, v[114:115]
	s_cbranch_vccnz .LBB2_831
; %bb.823:                              ;   in Loop: Header=BB2_756 Depth=3
	s_trap 2
	ds_load_b64 v[116:117], v0
	s_wait_dscnt 0x0
	v_cmp_eq_u64_e32 vcc_lo, 0, v[116:117]
	s_cbranch_vccnz .LBB2_831
; %bb.824:                              ;   in Loop: Header=BB2_756 Depth=3
	s_trap 2
	ds_load_b64 v[118:119], v0
	v_cmp_eq_u32_e32 vcc_lo, 0, v8
	s_mov_b32 s13, -1
	v_cndmask_b32_e32 v101, 0, v100, vcc_lo
	s_delay_alu instid0(VALU_DEP_1)
	v_lshlrev_b32_e32 v103, 2, v101
	s_wait_dscnt 0x0
	v_cmp_ne_u64_e32 vcc_lo, 0, v[118:119]
	s_cbranch_vccz .LBB2_858
; %bb.825:                              ;   in Loop: Header=BB2_756 Depth=3
	s_and_saveexec_b32 s14, s10
	s_cbranch_execz .LBB2_827
; %bb.826:                              ;   in Loop: Header=BB2_756 Depth=3
	ds_load_b32 v8, v0 offset:720
	s_wait_dscnt 0x0
	v_and_b32_e32 v8, 15, v8
	s_delay_alu instid0(VALU_DEP_1)
	v_cmp_eq_u32_e32 vcc_lo, 0, v8
	s_or_not1_b32 s13, vcc_lo, exec_lo
.LBB2_827:                              ;   in Loop: Header=BB2_756 Depth=3
	s_or_b32 exec_lo, exec_lo, s14
	s_and_saveexec_b32 s14, s11
	s_cbranch_execz .LBB2_829
; %bb.828:                              ;   in Loop: Header=BB2_756 Depth=3
	ds_load_b32 v8, v0 offset:784
	s_wait_dscnt 0x0
	v_and_b32_e32 v8, 15, v8
	s_delay_alu instid0(VALU_DEP_1) | instskip(SKIP_3) | instid1(SALU_CYCLE_1)
	v_cmp_eq_u32_e32 vcc_lo, 0, v8
	s_and_b32 s15, s13, vcc_lo
	s_and_not1_b32 s13, s13, exec_lo
	s_and_b32 s15, s15, exec_lo
	s_or_b32 s13, s13, s15
.LBB2_829:                              ;   in Loop: Header=BB2_756 Depth=3
	s_or_b32 exec_lo, exec_lo, s14
	s_xor_b32 s13, s13, -1
	v_dual_mov_b32 v42, 0 :: v_dual_mov_b32 v43, v103
	v_cndmask_b32_e64 v8, 0, 1, s13
	v_mov_b32_e32 v44, v0
	s_mov_b32 s14, -1
	s_delay_alu instid0(VALU_DEP_2)
	v_cmp_ne_u32_e32 vcc_lo, 0, v8
	s_cbranch_vccz .LBB2_832
; %bb.830:                              ;   in Loop: Header=BB2_756 Depth=3
	s_and_saveexec_b32 s15, s14
	s_cbranch_execnz .LBB2_847
	s_branch .LBB2_857
.LBB2_831:                              ;   in Loop: Header=BB2_756 Depth=3
	s_mov_b32 s13, 0
	s_and_saveexec_b32 s14, s2
	s_cbranch_execnz .LBB2_886
	s_branch .LBB2_904
.LBB2_832:                              ;   in Loop: Header=BB2_756 Depth=3
	v_ashrrev_i32_e32 v8, 31, v103
	s_mov_b32 s63, exec_lo
	v_sub_nc_u32_e32 v47, v103, v36
	s_delay_alu instid0(VALU_DEP_2) | instskip(NEXT) | instid1(VALU_DEP_1)
	v_lshrrev_b32_e32 v8, 23, v8
	v_add_nc_u32_e32 v8, v103, v8
	s_delay_alu instid0(VALU_DEP_1) | instskip(NEXT) | instid1(VALU_DEP_1)
	v_and_b32_e32 v46, 0xfffffe00, v8
	v_dual_ashrrev_i32 v8, 9, v8 :: v_dual_sub_nc_u32 v62, v103, v46
	s_delay_alu instid0(VALU_DEP_1) | instskip(NEXT) | instid1(VALU_DEP_2)
	v_sub_nc_u32_e32 v8, v8, v58
	v_cmp_lt_i32_e64 s13, 15, v62
	s_delay_alu instid0(VALU_DEP_1)
	v_add_co_ci_u32_e64 v63, null, 0, v8, s13
	v_cmpx_lt_i32_e32 15, v47
	s_cbranch_execz .LBB2_838
; %bb.833:                              ;   in Loop: Header=BB2_756 Depth=3
	v_add_nc_u64_e32 v[40:41], v[114:115], v[36:37]
	v_add_nc_u64_e32 v[42:43], v[116:117], v[36:37]
	;; [unrolled: 1-line block ×3, first 2 shown]
	s_mov_b32 s72, 0
.LBB2_834:                              ;   Parent Loop BB2_47 Depth=1
                                        ;     Parent Loop BB2_753 Depth=2
                                        ;       Parent Loop BB2_756 Depth=3
                                        ; =>      This Loop Header: Depth=4
                                        ;           Child Loop BB2_835 Depth 5
	global_load_b128 v[8:11], v[40:41], off th:TH_LOAD_NT
	s_mov_b64 s[16:17], 0
	s_mov_b32 s73, -1
.LBB2_835:                              ;   Parent Loop BB2_47 Depth=1
                                        ;     Parent Loop BB2_753 Depth=2
                                        ;       Parent Loop BB2_756 Depth=3
                                        ;         Parent Loop BB2_834 Depth=4
                                        ; =>        This Inner Loop Header: Depth=5
	s_cmp_eq_u32 s16, 1
	s_cselect_b32 vcc_lo, -1, 0
	s_cmp_eq_u32 s16, 0
	s_wait_xcnt 0x0
	v_dual_cndmask_b32 v73, v43, v45 :: v_dual_cndmask_b32 v72, v42, v44
	s_cselect_b32 s14, -1, 0
	s_and_b32 s15, exec_lo, s73
	s_mov_b64 s[16:17], 1
	s_mov_b32 s73, 0
	v_add_nc_u64_e32 v[74:75], 0x200, v[72:73]
	s_wait_loadcnt 0x0
	global_store_b128 v[72:73], v[8:11], off th:TH_STORE_NT
	v_dual_cndmask_b32 v45, v45, v75 :: v_dual_cndmask_b32 v44, v44, v74
	v_dual_cndmask_b32 v43, v43, v75, s14 :: v_dual_cndmask_b32 v42, v42, v74, s14
	s_mov_b32 vcc_lo, s15
	s_cbranch_vccnz .LBB2_835
; %bb.836:                              ;   in Loop: Header=BB2_834 Depth=4
	v_sub_nc_u32_e32 v47, v47, v50
	s_delay_alu instid0(VALU_DEP_2)
	v_add_nc_u64_e32 v[42:43], v[42:43], v[68:69]
	v_add_nc_u64_e32 v[44:45], v[44:45], v[68:69]
	s_wait_xcnt 0x1
	v_add_nc_u64_e32 v[40:41], v[80:81], v[40:41]
	v_sub_nc_u32_e32 v63, v63, v32
	v_cmp_gt_i32_e32 vcc_lo, 16, v47
	s_or_b32 s72, vcc_lo, s72
	s_wait_xcnt 0x0
	s_and_not1_b32 exec_lo, exec_lo, s72
	s_cbranch_execnz .LBB2_834
; %bb.837:                              ;   in Loop: Header=BB2_756 Depth=3
	s_or_b32 exec_lo, exec_lo, s72
.LBB2_838:                              ;   in Loop: Header=BB2_756 Depth=3
	s_delay_alu instid0(SALU_CYCLE_1) | instskip(SKIP_3) | instid1(VALU_DEP_1)
	s_or_b32 exec_lo, exec_lo, s63
	v_dual_mov_b32 v42, 0 :: v_dual_bitop2_b32 v8, 12, v103 bitop3:0x40
	s_mov_b32 s14, 0
	s_mov_b32 s63, exec_lo
                                        ; implicit-def: $vgpr43
                                        ; implicit-def: $vgpr44
	v_cndmask_b32_e64 v47, v62, v8, s13
	s_delay_alu instid0(VALU_DEP_1)
	v_cmpx_ne_u32_e32 0, v47
	s_cbranch_execz .LBB2_846
; %bb.839:                              ;   in Loop: Header=BB2_756 Depth=3
	v_cmp_lt_i32_e32 vcc_lo, 0, v63
	s_mov_b32 s72, exec_lo
	v_dual_ashrrev_i32 v11, 31, v47 :: v_dual_cndmask_b32 v9, 0, v32, vcc_lo
	s_delay_alu instid0(VALU_DEP_1) | instskip(NEXT) | instid1(VALU_DEP_2)
	v_lshrrev_b32_e32 v11, 23, v11
	v_sub_nc_u32_e32 v9, v9, v63
	s_delay_alu instid0(VALU_DEP_1) | instskip(NEXT) | instid1(VALU_DEP_1)
	v_lshl_or_b32 v9, v9, 5, v57
	v_ashrrev_i32_e32 v10, 31, v9
	s_delay_alu instid0(VALU_DEP_1) | instskip(NEXT) | instid1(VALU_DEP_1)
	v_lshrrev_b32_e32 v10, 27, v10
	v_add_nc_u32_e32 v10, v9, v10
	s_delay_alu instid0(VALU_DEP_1) | instskip(NEXT) | instid1(VALU_DEP_1)
	v_and_b32_e32 v40, 0xffffffe0, v10
	v_dual_add_nc_u32 v11, v47, v11 :: v_dual_sub_nc_u32 v63, v9, v40
	s_delay_alu instid0(VALU_DEP_1) | instskip(SKIP_2) | instid1(VALU_DEP_3)
	v_and_b32_e32 v72, 0xfffffe00, v11
	v_dual_ashrrev_i32 v9, 5, v10 :: v_dual_sub_nc_u32 v40, v62, v8
	v_ashrrev_i32_e32 v11, 9, v11
	v_dual_lshlrev_b32 v10, 4, v63 :: v_dual_sub_nc_u32 v62, v47, v72
	s_delay_alu instid0(VALU_DEP_1) | instskip(NEXT) | instid1(VALU_DEP_4)
	v_lshl_add_u32 v8, v9, 9, v10
	v_cndmask_b32_e64 v10, 0, v40, s13
	s_delay_alu instid0(VALU_DEP_3) | instskip(NEXT) | instid1(VALU_DEP_1)
	v_cmp_lt_i32_e64 s13, 15, v62
	v_add_co_ci_u32_e64 v11, null, 0, v11, s13
	s_delay_alu instid0(VALU_DEP_1) | instskip(NEXT) | instid1(VALU_DEP_4)
	v_sub_nc_u32_e32 v73, v11, v9
	v_dual_sub_nc_u32 v74, v47, v8 :: v_dual_add_nc_u32 v46, v10, v46
	s_delay_alu instid0(VALU_DEP_1)
	v_cmpx_lt_i32_e32 15, v74
	s_cbranch_execz .LBB2_845
; %bb.840:                              ;   in Loop: Header=BB2_756 Depth=3
	s_delay_alu instid0(VALU_DEP_2) | instskip(SKIP_1) | instid1(VALU_DEP_1)
	v_add_nc_u32_e32 v8, v8, v46
	s_mov_b32 s73, 0
	v_ashrrev_i32_e32 v9, 31, v8
	s_delay_alu instid0(VALU_DEP_1)
	v_add_nc_u64_e32 v[40:41], v[8:9], v[114:115]
	v_add_nc_u64_e32 v[42:43], v[8:9], v[116:117]
	;; [unrolled: 1-line block ×3, first 2 shown]
.LBB2_841:                              ;   Parent Loop BB2_47 Depth=1
                                        ;     Parent Loop BB2_753 Depth=2
                                        ;       Parent Loop BB2_756 Depth=3
                                        ; =>      This Loop Header: Depth=4
                                        ;           Child Loop BB2_842 Depth 5
	global_load_b128 v[8:11], v[40:41], off th:TH_LOAD_NT
	s_mov_b64 s[16:17], 0
	s_mov_b32 s74, -1
.LBB2_842:                              ;   Parent Loop BB2_47 Depth=1
                                        ;     Parent Loop BB2_753 Depth=2
                                        ;       Parent Loop BB2_756 Depth=3
                                        ;         Parent Loop BB2_841 Depth=4
                                        ; =>        This Inner Loop Header: Depth=5
	s_cmp_eq_u32 s16, 1
	s_cselect_b32 vcc_lo, -1, 0
	s_cmp_eq_u32 s16, 0
	s_wait_xcnt 0x0
	v_dual_cndmask_b32 v77, v43, v45 :: v_dual_cndmask_b32 v76, v42, v44
	s_cselect_b32 s14, -1, 0
	s_and_b32 s15, exec_lo, s74
	s_mov_b64 s[16:17], 1
	s_mov_b32 s74, 0
	v_add_nc_u64_e32 v[78:79], 0x200, v[76:77]
	s_wait_loadcnt 0x0
	global_store_b128 v[76:77], v[8:11], off th:TH_STORE_NT
	v_dual_cndmask_b32 v45, v45, v79 :: v_dual_cndmask_b32 v44, v44, v78
	v_dual_cndmask_b32 v43, v43, v79, s14 :: v_dual_cndmask_b32 v42, v42, v78, s14
	s_mov_b32 vcc_lo, s15
	s_cbranch_vccnz .LBB2_842
; %bb.843:                              ;   in Loop: Header=BB2_841 Depth=4
	v_dual_sub_nc_u32 v74, v74, v50 :: v_dual_sub_nc_u32 v73, v73, v32
	s_delay_alu instid0(VALU_DEP_2)
	v_add_nc_u64_e32 v[42:43], v[42:43], v[68:69]
	v_add_nc_u64_e32 v[44:45], v[44:45], v[68:69]
	s_wait_xcnt 0x1
	v_add_nc_u64_e32 v[40:41], v[80:81], v[40:41]
	v_cmp_gt_i32_e32 vcc_lo, 16, v74
	s_or_b32 s73, vcc_lo, s73
	s_wait_xcnt 0x0
	s_and_not1_b32 exec_lo, exec_lo, s73
	s_cbranch_execnz .LBB2_841
; %bb.844:                              ;   in Loop: Header=BB2_756 Depth=3
	s_or_b32 exec_lo, exec_lo, s73
.LBB2_845:                              ;   in Loop: Header=BB2_756 Depth=3
	s_delay_alu instid0(SALU_CYCLE_1) | instskip(SKIP_2) | instid1(VALU_DEP_1)
	s_or_b32 exec_lo, exec_lo, s72
	v_cmp_lt_i32_e32 vcc_lo, 0, v73
	v_dual_cndmask_b32 v10, 0, v32, vcc_lo :: v_dual_bitop2_b32 v8, 12, v47 bitop3:0x40
	v_dual_sub_nc_u32 v9, v62, v8 :: v_dual_cndmask_b32 v43, v62, v8, s13
	s_delay_alu instid0(VALU_DEP_1) | instskip(NEXT) | instid1(VALU_DEP_3)
	v_cndmask_b32_e64 v8, 0, v9, s13
	v_sub_nc_u32_e32 v9, v10, v73
	s_delay_alu instid0(VALU_DEP_3) | instskip(NEXT) | instid1(VALU_DEP_3)
	v_cmp_ne_u32_e32 vcc_lo, 0, v43
	v_add3_u32 v42, v72, v46, v8
	s_delay_alu instid0(VALU_DEP_3)
	v_lshl_add_u32 v44, v9, 5, v63
	s_and_b32 s14, vcc_lo, exec_lo
.LBB2_846:                              ;   in Loop: Header=BB2_756 Depth=3
	s_or_b32 exec_lo, exec_lo, s63
	s_and_saveexec_b32 s15, s14
	s_cbranch_execz .LBB2_857
.LBB2_847:                              ;   in Loop: Header=BB2_756 Depth=3
	v_dual_ashrrev_i32 v8, 31, v44 :: v_dual_ashrrev_i32 v9, 31, v43
	s_mov_b32 s13, exec_lo
	s_delay_alu instid0(VALU_DEP_1) | instskip(NEXT) | instid1(VALU_DEP_1)
	v_dual_lshrrev_b32 v8, 27, v8 :: v_dual_lshrrev_b32 v9, 24, v9
	v_dual_add_nc_u32 v8, v44, v8 :: v_dual_add_nc_u32 v9, v43, v9
	s_delay_alu instid0(VALU_DEP_1) | instskip(NEXT) | instid1(VALU_DEP_1)
	v_dual_ashrrev_i32 v45, 5, v8 :: v_dual_ashrrev_i32 v47, 8, v9
	v_sub_nc_u32_e32 v46, v47, v45
	s_delay_alu instid0(VALU_DEP_1)
	v_cmpx_lt_i32_e32 0, v46
	s_cbranch_execz .LBB2_851
; %bb.848:                              ;   in Loop: Header=BB2_756 Depth=3
	v_and_b32_e32 v8, 0x3fffffe0, v8
	s_mov_b32 s14, 0
	s_delay_alu instid0(VALU_DEP_1) | instskip(NEXT) | instid1(VALU_DEP_1)
	v_dual_lshlrev_b32 v9, 8, v45 :: v_dual_sub_nc_u32 v8, v44, v8
	v_lshlrev_b32_e32 v8, 2, v8
	s_delay_alu instid0(VALU_DEP_1) | instskip(NEXT) | instid1(VALU_DEP_1)
	v_add3_u32 v40, v8, v42, v9
	v_ashrrev_i32_e32 v41, 31, v40
	s_delay_alu instid0(VALU_DEP_1)
	v_add_nc_u64_e32 v[8:9], v[40:41], v[114:115]
	v_add_nc_u64_e32 v[10:11], v[40:41], v[116:117]
	;; [unrolled: 1-line block ×3, first 2 shown]
.LBB2_849:                              ;   Parent Loop BB2_47 Depth=1
                                        ;     Parent Loop BB2_753 Depth=2
                                        ;       Parent Loop BB2_756 Depth=3
                                        ; =>      This Inner Loop Header: Depth=4
	s_clause 0x1
	flat_load_b32 v62, v[8:9] th:TH_LOAD_NT
	flat_load_b32 v63, v[8:9] offset:128 th:TH_LOAD_NT
	v_sub_nc_u32_e32 v46, v46, v32
	s_wait_xcnt 0x0
	v_add_nc_u64_e32 v[8:9], v[8:9], v[52:53]
	s_wait_loadcnt_dscnt 0x101
	flat_store_b32 v[10:11], v62 th:TH_STORE_NT
	s_wait_loadcnt_dscnt 0x1
	flat_store_b32 v[10:11], v63 offset:128 th:TH_STORE_NT
	s_clause 0x1
	flat_store_b32 v[40:41], v62 th:TH_STORE_NT
	flat_store_b32 v[40:41], v63 offset:128 th:TH_STORE_NT
	v_cmp_gt_i32_e32 vcc_lo, 1, v46
	s_wait_xcnt 0x2
	v_add_nc_u64_e32 v[10:11], v[10:11], v[52:53]
	s_wait_xcnt 0x0
	v_add_nc_u64_e32 v[40:41], v[40:41], v[52:53]
	s_or_b32 s14, vcc_lo, s14
	s_delay_alu instid0(SALU_CYCLE_1)
	s_and_not1_b32 exec_lo, exec_lo, s14
	s_cbranch_execnz .LBB2_849
; %bb.850:                              ;   in Loop: Header=BB2_756 Depth=3
	s_or_b32 exec_lo, exec_lo, s14
.LBB2_851:                              ;   in Loop: Header=BB2_756 Depth=3
	s_delay_alu instid0(SALU_CYCLE_1) | instskip(SKIP_1) | instid1(VALU_DEP_1)
	s_or_b32 exec_lo, exec_lo, s13
	v_lshlrev_b32_e32 v8, 8, v47
	v_cmp_ne_u32_e32 vcc_lo, v43, v8
	s_and_b32 exec_lo, exec_lo, vcc_lo
	s_cbranch_execz .LBB2_857
; %bb.852:                              ;   in Loop: Header=BB2_756 Depth=3
	v_dual_lshlrev_b32 v9, 5, v45 :: v_dual_lshlrev_b32 v10, 5, v46
	s_delay_alu instid0(VALU_DEP_1) | instskip(NEXT) | instid1(VALU_DEP_1)
	v_sub_nc_u32_e32 v9, v44, v9
	v_sub_nc_u32_e32 v9, v9, v10
	s_delay_alu instid0(VALU_DEP_1) | instskip(NEXT) | instid1(VALU_DEP_1)
	v_ashrrev_i32_e32 v10, 31, v9
	v_lshrrev_b32_e32 v10, 27, v10
	s_delay_alu instid0(VALU_DEP_1) | instskip(NEXT) | instid1(VALU_DEP_1)
	v_add_nc_u32_e32 v10, v9, v10
	v_and_b32_e32 v11, 0x3fffffe0, v10
	s_delay_alu instid0(VALU_DEP_1) | instskip(NEXT) | instid1(VALU_DEP_1)
	v_dual_lshlrev_b32 v10, 2, v10 :: v_dual_sub_nc_u32 v9, v9, v11
	v_and_b32_e32 v10, 0xffffff80, v10
	s_delay_alu instid0(VALU_DEP_2) | instskip(NEXT) | instid1(VALU_DEP_1)
	v_lshlrev_b32_e32 v9, 2, v9
	v_add3_u32 v8, v10, v9, v8
	s_delay_alu instid0(VALU_DEP_1) | instskip(NEXT) | instid1(VALU_DEP_1)
	v_sub_nc_u32_e32 v40, v43, v8
	v_cmp_lt_i32_e32 vcc_lo, 3, v40
	s_and_b32 exec_lo, exec_lo, vcc_lo
	s_cbranch_execz .LBB2_857
; %bb.853:                              ;   in Loop: Header=BB2_756 Depth=3
	v_add_nc_u32_e32 v42, v8, v42
	s_mov_b32 s63, 0
	s_delay_alu instid0(VALU_DEP_1) | instskip(NEXT) | instid1(VALU_DEP_1)
	v_ashrrev_i32_e32 v43, 31, v42
	v_add_nc_u64_e32 v[8:9], v[42:43], v[114:115]
	v_add_nc_u64_e32 v[10:11], v[42:43], v[116:117]
	;; [unrolled: 1-line block ×3, first 2 shown]
.LBB2_854:                              ;   Parent Loop BB2_47 Depth=1
                                        ;     Parent Loop BB2_753 Depth=2
                                        ;       Parent Loop BB2_756 Depth=3
                                        ; =>      This Loop Header: Depth=4
                                        ;           Child Loop BB2_855 Depth 5
	flat_load_b32 v41, v[8:9] th:TH_LOAD_NT
	s_mov_b64 s[16:17], 0
	s_mov_b32 s72, -1
.LBB2_855:                              ;   Parent Loop BB2_47 Depth=1
                                        ;     Parent Loop BB2_753 Depth=2
                                        ;       Parent Loop BB2_756 Depth=3
                                        ;         Parent Loop BB2_854 Depth=4
                                        ; =>        This Inner Loop Header: Depth=5
	s_cmp_eq_u32 s16, 1
	s_cselect_b32 vcc_lo, -1, 0
	s_cmp_eq_u32 s16, 0
	s_wait_xcnt 0x0
	v_dual_cndmask_b32 v43, v11, v119 :: v_dual_cndmask_b32 v42, v10, v118
	s_cselect_b32 s13, -1, 0
	s_and_b32 s14, exec_lo, s72
	s_mov_b64 s[16:17], 1
	s_mov_b32 s72, 0
	v_add_nc_u64_e32 v[44:45], 0x80, v[42:43]
	s_wait_loadcnt_dscnt 0x0
	flat_store_b32 v[42:43], v41 th:TH_STORE_NT
	v_dual_cndmask_b32 v119, v119, v45 :: v_dual_cndmask_b32 v118, v118, v44
	v_dual_cndmask_b32 v11, v11, v45, s13 :: v_dual_cndmask_b32 v10, v10, v44, s13
	s_mov_b32 vcc_lo, s14
	s_cbranch_vccnz .LBB2_855
; %bb.856:                              ;   in Loop: Header=BB2_854 Depth=4
	v_sub_nc_u32_e32 v40, v40, v54
	s_delay_alu instid0(VALU_DEP_2)
	v_add_nc_u64_e32 v[10:11], v[10:11], v[70:71]
	v_add_nc_u64_e32 v[118:119], v[118:119], v[70:71]
	s_wait_xcnt 0x1
	v_add_nc_u64_e32 v[8:9], v[82:83], v[8:9]
	v_cmp_gt_i32_e32 vcc_lo, 4, v40
	s_or_b32 s63, vcc_lo, s63
	s_wait_xcnt 0x0
	s_and_not1_b32 exec_lo, exec_lo, s63
	s_cbranch_execnz .LBB2_854
.LBB2_857:                              ;   in Loop: Header=BB2_756 Depth=3
	s_or_b32 exec_lo, exec_lo, s15
	s_mov_b32 s13, 0
.LBB2_858:                              ;   in Loop: Header=BB2_756 Depth=3
	s_delay_alu instid0(SALU_CYCLE_1)
	s_and_b32 vcc_lo, exec_lo, s13
	s_cbranch_vccz .LBB2_885
; %bb.859:                              ;   in Loop: Header=BB2_756 Depth=3
	s_mov_b32 s13, -1
	s_and_saveexec_b32 s14, s10
	s_cbranch_execz .LBB2_861
; %bb.860:                              ;   in Loop: Header=BB2_756 Depth=3
	ds_load_b32 v8, v0 offset:720
	s_wait_dscnt 0x0
	v_and_b32_e32 v8, 15, v8
	s_delay_alu instid0(VALU_DEP_1)
	v_cmp_eq_u32_e32 vcc_lo, 0, v8
	s_or_not1_b32 s13, vcc_lo, exec_lo
.LBB2_861:                              ;   in Loop: Header=BB2_756 Depth=3
	s_or_b32 exec_lo, exec_lo, s14
	s_and_saveexec_b32 s14, s7
	s_cbranch_execz .LBB2_863
; %bb.862:                              ;   in Loop: Header=BB2_756 Depth=3
	ds_load_b32 v8, v0 offset:784
	s_wait_dscnt 0x0
	v_and_b32_e32 v8, 15, v8
	s_delay_alu instid0(VALU_DEP_1) | instskip(SKIP_3) | instid1(SALU_CYCLE_1)
	v_cmp_eq_u32_e32 vcc_lo, 0, v8
	s_and_b32 s15, s13, vcc_lo
	s_and_not1_b32 s13, s13, exec_lo
	s_and_b32 s15, s15, exec_lo
	s_or_b32 s13, s13, s15
.LBB2_863:                              ;   in Loop: Header=BB2_756 Depth=3
	s_or_b32 exec_lo, exec_lo, s14
	s_xor_b32 s13, s13, -1
	v_mov_b32_e32 v10, 0
	v_cndmask_b32_e64 v8, 0, 1, s13
	s_mov_b32 s15, -1
	s_delay_alu instid0(VALU_DEP_1)
	v_cmp_ne_u32_e32 vcc_lo, 0, v8
	s_cbranch_vccz .LBB2_865
; %bb.864:                              ;   in Loop: Header=BB2_756 Depth=3
	v_mov_b32_e32 v11, v0
	s_and_saveexec_b32 s13, s15
	s_cbranch_execnz .LBB2_876
	s_branch .LBB2_884
.LBB2_865:                              ;   in Loop: Header=BB2_756 Depth=3
	v_ashrrev_i32_e32 v8, 31, v103
	s_mov_b32 s13, exec_lo
	s_delay_alu instid0(VALU_DEP_1) | instskip(NEXT) | instid1(VALU_DEP_1)
	v_lshrrev_b32_e32 v8, 22, v8
	v_add_nc_u32_e32 v8, v103, v8
	s_delay_alu instid0(VALU_DEP_1) | instskip(NEXT) | instid1(VALU_DEP_1)
	v_ashrrev_i32_e32 v10, 10, v8
	v_sub_nc_u32_e32 v119, v10, v58
	s_delay_alu instid0(VALU_DEP_1)
	v_cmpx_lt_i32_e32 0, v119
	s_cbranch_execz .LBB2_869
; %bb.866:                              ;   in Loop: Header=BB2_756 Depth=3
	v_mov_b64_e32 v[8:9], v[66:67]
	s_mov_b32 s14, 0
.LBB2_867:                              ;   Parent Loop BB2_47 Depth=1
                                        ;     Parent Loop BB2_753 Depth=2
                                        ;       Parent Loop BB2_756 Depth=3
                                        ; =>      This Inner Loop Header: Depth=4
	s_delay_alu instid0(VALU_DEP_1)
	v_add_nc_u64_e32 v[44:45], v[114:115], v[8:9]
	v_sub_nc_u32_e32 v119, v119, v32
	v_add_nc_u64_e32 v[62:63], v[116:117], v[8:9]
	v_add_nc_u64_e32 v[8:9], v[8:9], v[48:49]
	s_clause 0x1
	global_load_b128 v[40:43], v[44:45], off th:TH_LOAD_NT
	global_load_b128 v[44:47], v[44:45], off offset:512 th:TH_LOAD_NT
	v_cmp_gt_i32_e32 vcc_lo, 1, v119
	s_wait_loadcnt 0x1
	global_store_b128 v[62:63], v[40:43], off th:TH_STORE_NT
	s_wait_loadcnt 0x0
	global_store_b128 v[62:63], v[44:47], off offset:512 th:TH_STORE_NT
	s_or_b32 s14, vcc_lo, s14
	s_wait_xcnt 0x0
	s_and_not1_b32 exec_lo, exec_lo, s14
	s_cbranch_execnz .LBB2_867
; %bb.868:                              ;   in Loop: Header=BB2_756 Depth=3
	s_or_b32 exec_lo, exec_lo, s14
.LBB2_869:                              ;   in Loop: Header=BB2_756 Depth=3
	s_delay_alu instid0(SALU_CYCLE_1) | instskip(SKIP_3) | instid1(VALU_DEP_1)
	s_or_b32 exec_lo, exec_lo, s13
	v_dual_lshlrev_b32 v118, 10, v10 :: v_dual_mov_b32 v10, 0
	s_mov_b32 s15, 0
	s_mov_b32 s14, exec_lo
                                        ; implicit-def: $vgpr11
	v_cmpx_ne_u32_e64 v103, v118
	s_cbranch_execz .LBB2_875
; %bb.870:                              ;   in Loop: Header=BB2_756 Depth=3
	v_dual_lshlrev_b32 v8, 5, v119 :: v_dual_sub_nc_u32 v40, v103, v118
	s_mov_b32 s15, exec_lo
	s_delay_alu instid0(VALU_DEP_1) | instskip(NEXT) | instid1(VALU_DEP_2)
	v_sub_nc_u32_e32 v8, v57, v8
	v_ashrrev_i32_e32 v10, 31, v40
	s_delay_alu instid0(VALU_DEP_1) | instskip(NEXT) | instid1(VALU_DEP_1)
	v_dual_ashrrev_i32 v9, 31, v8 :: v_dual_lshrrev_b32 v10, 23, v10
	v_lshrrev_b32_e32 v9, 27, v9
	s_delay_alu instid0(VALU_DEP_1) | instskip(NEXT) | instid1(VALU_DEP_3)
	v_add_nc_u32_e32 v9, v8, v9
	v_add_nc_u32_e32 v41, v40, v10
	s_delay_alu instid0(VALU_DEP_2) | instskip(SKIP_1) | instid1(VALU_DEP_3)
	v_and_b32_e32 v11, 0xffffffe0, v9
	v_ashrrev_i32_e32 v9, 5, v9
	v_and_b32_e32 v10, 0xfffffe00, v41
	s_delay_alu instid0(VALU_DEP_3) | instskip(NEXT) | instid1(VALU_DEP_1)
	v_dual_ashrrev_i32 v41, 9, v41 :: v_dual_sub_nc_u32 v11, v8, v11
	v_dual_sub_nc_u32 v119, v40, v10 :: v_dual_lshlrev_b32 v8, 4, v11
	s_delay_alu instid0(VALU_DEP_1) | instskip(NEXT) | instid1(VALU_DEP_2)
	v_cmp_lt_i32_e32 vcc_lo, 15, v119
	v_lshl_add_u32 v8, v9, 9, v8
	s_delay_alu instid0(VALU_DEP_4) | instskip(NEXT) | instid1(VALU_DEP_1)
	v_add_co_ci_u32_e64 v42, null, 0, v41, vcc_lo
	v_dual_sub_nc_u32 v41, v40, v8 :: v_dual_sub_nc_u32 v40, v42, v9
	s_delay_alu instid0(VALU_DEP_1)
	v_cmpx_lt_i32_e32 15, v41
	s_cbranch_execz .LBB2_874
; %bb.871:                              ;   in Loop: Header=BB2_756 Depth=3
	v_add_nc_u32_e32 v8, v8, v118
	s_mov_b32 s16, 0
	s_delay_alu instid0(VALU_DEP_1)
	v_ashrrev_i32_e32 v9, 31, v8
.LBB2_872:                              ;   Parent Loop BB2_47 Depth=1
                                        ;     Parent Loop BB2_753 Depth=2
                                        ;       Parent Loop BB2_756 Depth=3
                                        ; =>      This Inner Loop Header: Depth=4
	s_delay_alu instid0(VALU_DEP_1) | instskip(SKIP_3) | instid1(VALU_DEP_3)
	v_add_nc_u64_e32 v[42:43], v[114:115], v[8:9]
	v_dual_sub_nc_u32 v41, v41, v50 :: v_dual_sub_nc_u32 v40, v40, v32
	v_add_nc_u64_e32 v[46:47], v[116:117], v[8:9]
	v_add_nc_u64_e32 v[8:9], v[8:9], v[50:51]
	v_cmp_gt_i32_e64 s13, 16, v41
	global_load_b128 v[42:45], v[42:43], off th:TH_LOAD_NT
	s_or_b32 s16, s13, s16
	s_wait_loadcnt 0x0
	global_store_b128 v[46:47], v[42:45], off th:TH_STORE_NT
	s_wait_xcnt 0x0
	s_and_not1_b32 exec_lo, exec_lo, s16
	s_cbranch_execnz .LBB2_872
; %bb.873:                              ;   in Loop: Header=BB2_756 Depth=3
	s_or_b32 exec_lo, exec_lo, s16
.LBB2_874:                              ;   in Loop: Header=BB2_756 Depth=3
	s_delay_alu instid0(SALU_CYCLE_1) | instskip(NEXT) | instid1(VALU_DEP_2)
	s_or_b32 exec_lo, exec_lo, s15
	v_cmp_lt_i32_e64 s13, 0, v40
	s_delay_alu instid0(VALU_DEP_1) | instskip(NEXT) | instid1(VALU_DEP_1)
	v_dual_cndmask_b32 v41, 0, v32, s13 :: v_dual_bitop2_b32 v8, 12, v103 bitop3:0x40
	v_dual_sub_nc_u32 v9, v119, v8 :: v_dual_cndmask_b32 v103, v119, v8, vcc_lo
	s_delay_alu instid0(VALU_DEP_1) | instskip(NEXT) | instid1(VALU_DEP_2)
	v_dual_cndmask_b32 v8, 0, v9 :: v_dual_sub_nc_u32 v9, v41, v40
	v_cmp_ne_u32_e32 vcc_lo, 0, v103
	s_delay_alu instid0(VALU_DEP_2) | instskip(NEXT) | instid1(VALU_DEP_3)
	v_add3_u32 v10, v10, v118, v8
	v_lshl_add_u32 v11, v9, 5, v11
	s_and_b32 s15, vcc_lo, exec_lo
.LBB2_875:                              ;   in Loop: Header=BB2_756 Depth=3
	s_or_b32 exec_lo, exec_lo, s14
	s_and_saveexec_b32 s13, s15
	s_cbranch_execz .LBB2_884
.LBB2_876:                              ;   in Loop: Header=BB2_756 Depth=3
	v_ashrrev_i32_e32 v9, 31, v103
	v_ashrrev_i32_e32 v8, 31, v11
	s_mov_b32 s14, exec_lo
	s_delay_alu instid0(VALU_DEP_1) | instskip(NEXT) | instid1(VALU_DEP_1)
	v_dual_lshrrev_b32 v9, 24, v9 :: v_dual_lshrrev_b32 v8, 27, v8
	v_add_nc_u32_e32 v9, v103, v9
	s_delay_alu instid0(VALU_DEP_1) | instskip(NEXT) | instid1(VALU_DEP_1)
	v_dual_add_nc_u32 v8, v11, v8 :: v_dual_ashrrev_i32 v40, 8, v9
	v_ashrrev_i32_e32 v118, 5, v8
	s_delay_alu instid0(VALU_DEP_1) | instskip(NEXT) | instid1(VALU_DEP_1)
	v_sub_nc_u32_e32 v119, v40, v118
	v_cmpx_lt_i32_e32 0, v119
	s_cbranch_execz .LBB2_880
; %bb.877:                              ;   in Loop: Header=BB2_756 Depth=3
	v_and_b32_e32 v8, 0x3fffffe0, v8
	s_mov_b32 s15, 0
	s_delay_alu instid0(VALU_DEP_1) | instskip(NEXT) | instid1(VALU_DEP_1)
	v_dual_lshlrev_b32 v9, 8, v118 :: v_dual_sub_nc_u32 v8, v11, v8
	v_lshlrev_b32_e32 v8, 2, v8
	s_delay_alu instid0(VALU_DEP_1) | instskip(NEXT) | instid1(VALU_DEP_1)
	v_add3_u32 v8, v8, v10, v9
	v_ashrrev_i32_e32 v9, 31, v8
.LBB2_878:                              ;   Parent Loop BB2_47 Depth=1
                                        ;     Parent Loop BB2_753 Depth=2
                                        ;       Parent Loop BB2_756 Depth=3
                                        ; =>      This Inner Loop Header: Depth=4
	s_delay_alu instid0(VALU_DEP_1)
	v_add_nc_u64_e32 v[42:43], v[114:115], v[8:9]
	v_sub_nc_u32_e32 v119, v119, v32
	s_clause 0x1
	flat_load_b32 v41, v[42:43] th:TH_LOAD_NT
	flat_load_b32 v44, v[42:43] offset:128 th:TH_LOAD_NT
	s_wait_xcnt 0x0
	v_add_nc_u64_e32 v[42:43], v[116:117], v[8:9]
	v_cmp_gt_i32_e32 vcc_lo, 1, v119
	v_add_nc_u64_e32 v[8:9], v[8:9], v[52:53]
	s_wait_loadcnt_dscnt 0x101
	flat_store_b32 v[42:43], v41 th:TH_STORE_NT
	s_wait_loadcnt_dscnt 0x1
	flat_store_b32 v[42:43], v44 offset:128 th:TH_STORE_NT
	s_or_b32 s15, vcc_lo, s15
	s_wait_xcnt 0x0
	s_and_not1_b32 exec_lo, exec_lo, s15
	s_cbranch_execnz .LBB2_878
; %bb.879:                              ;   in Loop: Header=BB2_756 Depth=3
	s_or_b32 exec_lo, exec_lo, s15
.LBB2_880:                              ;   in Loop: Header=BB2_756 Depth=3
	s_delay_alu instid0(SALU_CYCLE_1) | instskip(SKIP_1) | instid1(VALU_DEP_1)
	s_or_b32 exec_lo, exec_lo, s14
	v_lshlrev_b32_e32 v8, 8, v40
	v_cmp_ne_u32_e32 vcc_lo, v103, v8
	s_and_b32 exec_lo, exec_lo, vcc_lo
	s_cbranch_execz .LBB2_884
; %bb.881:                              ;   in Loop: Header=BB2_756 Depth=3
	v_lshlrev_b32_e32 v9, 5, v118
	s_delay_alu instid0(VALU_DEP_1) | instskip(NEXT) | instid1(VALU_DEP_1)
	v_dual_sub_nc_u32 v9, v11, v9 :: v_dual_lshlrev_b32 v11, 5, v119
	v_sub_nc_u32_e32 v9, v9, v11
	s_delay_alu instid0(VALU_DEP_1) | instskip(NEXT) | instid1(VALU_DEP_1)
	v_ashrrev_i32_e32 v11, 31, v9
	v_lshrrev_b32_e32 v11, 27, v11
	s_delay_alu instid0(VALU_DEP_1) | instskip(NEXT) | instid1(VALU_DEP_1)
	v_add_nc_u32_e32 v11, v9, v11
	v_and_b32_e32 v118, 0x3fffffe0, v11
	s_delay_alu instid0(VALU_DEP_1) | instskip(NEXT) | instid1(VALU_DEP_1)
	v_dual_lshlrev_b32 v11, 2, v11 :: v_dual_sub_nc_u32 v9, v9, v118
	v_and_b32_e32 v11, 0xffffff80, v11
	s_delay_alu instid0(VALU_DEP_2) | instskip(NEXT) | instid1(VALU_DEP_1)
	v_lshlrev_b32_e32 v9, 2, v9
	v_add3_u32 v8, v11, v9, v8
	s_delay_alu instid0(VALU_DEP_1) | instskip(NEXT) | instid1(VALU_DEP_1)
	v_sub_nc_u32_e32 v11, v103, v8
	v_cmp_lt_i32_e32 vcc_lo, 3, v11
	s_and_b32 exec_lo, exec_lo, vcc_lo
	s_cbranch_execz .LBB2_884
; %bb.882:                              ;   in Loop: Header=BB2_756 Depth=3
	v_add_nc_u32_e32 v8, v8, v10
	s_mov_b32 s14, 0
	s_delay_alu instid0(VALU_DEP_1)
	v_ashrrev_i32_e32 v9, 31, v8
.LBB2_883:                              ;   Parent Loop BB2_47 Depth=1
                                        ;     Parent Loop BB2_753 Depth=2
                                        ;       Parent Loop BB2_756 Depth=3
                                        ; =>      This Inner Loop Header: Depth=4
	s_delay_alu instid0(VALU_DEP_1) | instskip(SKIP_1) | instid1(VALU_DEP_1)
	v_add_nc_u64_e32 v[118:119], v[114:115], v[8:9]
	v_sub_nc_u32_e32 v11, v11, v54
	v_cmp_gt_i32_e32 vcc_lo, 4, v11
	flat_load_b32 v10, v[118:119] th:TH_LOAD_NT
	s_wait_xcnt 0x0
	v_add_nc_u64_e32 v[118:119], v[116:117], v[8:9]
	v_add_nc_u64_e32 v[8:9], v[8:9], v[54:55]
	s_or_b32 s14, vcc_lo, s14
	s_wait_loadcnt_dscnt 0x0
	flat_store_b32 v[118:119], v10 th:TH_STORE_NT
	s_wait_xcnt 0x0
	s_and_not1_b32 exec_lo, exec_lo, s14
	s_cbranch_execnz .LBB2_883
.LBB2_884:                              ;   in Loop: Header=BB2_756 Depth=3
	s_or_b32 exec_lo, exec_lo, s13
.LBB2_885:                              ;   in Loop: Header=BB2_756 Depth=3
	v_cmp_lt_i32_e64 s13, 0, v101
	s_and_saveexec_b32 s14, s2
	s_cbranch_execz .LBB2_904
.LBB2_886:                              ;   in Loop: Header=BB2_756 Depth=3
	s_and_saveexec_b32 s15, s3
	s_delay_alu instid0(SALU_CYCLE_1)
	s_xor_b32 s15, exec_lo, s15
	s_cbranch_execz .LBB2_901
; %bb.887:                              ;   in Loop: Header=BB2_756 Depth=3
	s_and_saveexec_b32 s16, s6
	s_cbranch_execz .LBB2_900
; %bb.888:                              ;   in Loop: Header=BB2_756 Depth=3
	s_mov_b32 s63, exec_lo
	s_mov_b32 s17, exec_lo
	v_mbcnt_lo_u32_b32 v8, s63, 0
	global_wb scope:SCOPE_DEV
	s_wait_storecnt 0x0
	s_wait_loadcnt_dscnt 0x0
	global_inv scope:SCOPE_DEV
	v_cmpx_eq_u32_e32 0, v8
	s_cbranch_execz .LBB2_890
; %bb.889:                              ;   in Loop: Header=BB2_756 Depth=3
	s_bcnt1_i32_b32 s63, s63
	s_delay_alu instid0(SALU_CYCLE_1)
	v_dual_mov_b32 v9, v2 :: v_dual_mov_b32 v8, s63
	s_wait_loadcnt 0x0
	ds_add_u64 v0, v[8:9]
	s_trap 2
.LBB2_890:                              ;   in Loop: Header=BB2_756 Depth=3
	s_or_b32 exec_lo, exec_lo, s17
	s_trap 2
	ds_load_b64 v[8:9], v0
	s_wait_dscnt 0x0
	v_add_nc_u64_e32 v[12:13], v[12:13], v[32:33]
	s_mov_b32 s17, exec_lo
	s_delay_alu instid0(VALU_DEP_1)
	v_cmpx_lt_u64_e64 v[8:9], v[12:13]
	s_cbranch_execz .LBB2_899
; %bb.891:                              ;   in Loop: Header=BB2_756 Depth=3
	s_mov_b32 s63, 0
	s_mov_b32 s74, 0
                                        ; implicit-def: $sgpr72
                                        ; implicit-def: $sgpr73
	s_branch .LBB2_893
.LBB2_892:                              ;   in Loop: Header=BB2_893 Depth=4
	s_or_b32 exec_lo, exec_lo, s76
	s_delay_alu instid0(SALU_CYCLE_1) | instskip(NEXT) | instid1(SALU_CYCLE_1)
	s_and_b32 s75, exec_lo, s77
	s_or_b32 s63, s75, s63
	s_and_not1_b32 s72, s72, exec_lo
	s_and_b32 s75, s73, exec_lo
	s_delay_alu instid0(SALU_CYCLE_1)
	s_or_b32 s72, s72, s75
	s_and_not1_b32 exec_lo, exec_lo, s63
	s_cbranch_execz .LBB2_897
.LBB2_893:                              ;   Parent Loop BB2_47 Depth=1
                                        ;     Parent Loop BB2_753 Depth=2
                                        ;       Parent Loop BB2_756 Depth=3
                                        ; =>      This Inner Loop Header: Depth=4
	s_add_co_i32 s74, s74, 1
	s_delay_alu instid0(SALU_CYCLE_1) | instskip(SKIP_1) | instid1(SALU_CYCLE_1)
	s_cmp_lg_u32 s74, 0x2710
	s_cselect_b32 s75, -1, 0
	s_and_b32 vcc_lo, exec_lo, s75
	s_cbranch_vccz .LBB2_895
; %bb.894:                              ;   in Loop: Header=BB2_893 Depth=4
	s_mov_b32 s77, -1
	s_or_b32 s73, s73, exec_lo
	s_and_saveexec_b32 s76, s75
	s_cbranch_execz .LBB2_892
	s_branch .LBB2_896
.LBB2_895:                              ;   in Loop: Header=BB2_893 Depth=4
	s_trap 2
	ds_load_b64 v[8:9], v0
	s_and_not1_b32 s75, s75, exec_lo
	s_mov_b32 s74, 0
	s_wait_loadcnt_dscnt 0x0
	flat_load_b32 v8, v[8:9] scope:SCOPE_SYS
	s_wait_loadcnt_dscnt 0x0
	global_inv scope:SCOPE_SYS
	v_cmp_eq_u32_e32 vcc_lo, 0, v8
	s_and_b32 s76, vcc_lo, exec_lo
	s_delay_alu instid0(SALU_CYCLE_1)
	s_or_b32 s75, s75, s76
	s_mov_b32 s77, -1
	s_or_b32 s73, s73, exec_lo
	s_and_saveexec_b32 s76, s75
	s_cbranch_execz .LBB2_892
.LBB2_896:                              ;   in Loop: Header=BB2_893 Depth=4
	s_sleep 1
	s_trap 2
	ds_load_b64 v[8:9], v0
	s_wait_dscnt 0x0
	s_and_not1_b32 s73, s73, exec_lo
	v_cmp_ge_u64_e32 vcc_lo, v[8:9], v[12:13]
	s_or_not1_b32 s77, vcc_lo, exec_lo
	s_branch .LBB2_892
.LBB2_897:                              ;   in Loop: Header=BB2_756 Depth=3
	s_or_b32 exec_lo, exec_lo, s63
	s_and_saveexec_b32 s63, s72
	s_delay_alu instid0(SALU_CYCLE_1)
	s_xor_b32 s63, exec_lo, s63
	s_cbranch_execz .LBB2_899
; %bb.898:                              ;   in Loop: Header=BB2_756 Depth=3
	ds_store_b32 v0, v59
	s_trap 2
.LBB2_899:                              ;   in Loop: Header=BB2_756 Depth=3
	s_or_b32 exec_lo, exec_lo, s17
	;;#ASMSTART
	s_wakeup
	;;#ASMEND
.LBB2_900:                              ;   in Loop: Header=BB2_756 Depth=3
	s_or_b32 exec_lo, exec_lo, s16
.LBB2_901:                              ;   in Loop: Header=BB2_756 Depth=3
	s_and_not1_saveexec_b32 s15, s15
	s_cbranch_execz .LBB2_903
; %bb.902:                              ;   in Loop: Header=BB2_756 Depth=3
	global_wb scope:SCOPE_DEV
	s_wait_storecnt 0x0
	s_wait_loadcnt_dscnt 0x0
	global_inv scope:SCOPE_DEV
	s_barrier_signal -1
	s_barrier_wait -1
.LBB2_903:                              ;   in Loop: Header=BB2_756 Depth=3
	s_or_b32 exec_lo, exec_lo, s15
.LBB2_904:                              ;   in Loop: Header=BB2_756 Depth=3
	s_delay_alu instid0(SALU_CYCLE_1) | instskip(SKIP_2) | instid1(SALU_CYCLE_1)
	s_or_b32 exec_lo, exec_lo, s14
	v_and_b32_e32 v8, 16, v30
	s_and_saveexec_b32 s14, s12
	s_xor_b32 s14, exec_lo, s14
	s_cbranch_execz .LBB2_908
; %bb.905:                              ;   in Loop: Header=BB2_756 Depth=3
	v_and_b32_e32 v8, 16, v30
	s_delay_alu instid0(VALU_DEP_1) | instskip(SKIP_2) | instid1(SALU_CYCLE_1)
	v_cmp_ne_u32_e32 vcc_lo, 0, v8
	v_and_b32_e32 v8, 16, v30
	s_and_b32 s15, vcc_lo, s13
	s_and_saveexec_b32 s13, s15
	s_cbranch_execz .LBB2_907
; %bb.906:                              ;   in Loop: Header=BB2_756 Depth=3
	v_mov_b32_e32 v8, 1
	global_wb scope:SCOPE_SYS
	s_wait_storecnt 0x0
	s_wait_loadcnt_dscnt 0x0
	global_inv scope:SCOPE_SYS
.LBB2_907:                              ;   in Loop: Header=BB2_756 Depth=3
	s_or_b32 exec_lo, exec_lo, s13
.LBB2_908:                              ;   in Loop: Header=BB2_756 Depth=3
	s_and_not1_saveexec_b32 s13, s14
	s_cbranch_execz .LBB2_927
; %bb.909:                              ;   in Loop: Header=BB2_756 Depth=3
	s_and_saveexec_b32 s14, s3
	s_delay_alu instid0(SALU_CYCLE_1)
	s_xor_b32 s14, exec_lo, s14
	s_cbranch_execz .LBB2_924
; %bb.910:                              ;   in Loop: Header=BB2_756 Depth=3
	s_and_saveexec_b32 s15, s6
	s_cbranch_execz .LBB2_923
; %bb.911:                              ;   in Loop: Header=BB2_756 Depth=3
	s_mov_b32 s17, exec_lo
	s_mov_b32 s16, exec_lo
	v_mbcnt_lo_u32_b32 v9, s17, 0
	;;#ASMSTART
	s_waitcnt lgkmcnt(0) vmcnt(0)
	;;#ASMEND
	s_delay_alu instid0(VALU_DEP_1)
	v_cmpx_eq_u32_e32 0, v9
	s_cbranch_execz .LBB2_913
; %bb.912:                              ;   in Loop: Header=BB2_756 Depth=3
	s_bcnt1_i32_b32 s17, s17
	s_delay_alu instid0(SALU_CYCLE_1)
	v_dual_mov_b32 v11, v2 :: v_dual_mov_b32 v10, s17
	s_wait_storecnt 0x0
	s_wait_loadcnt_dscnt 0x0
	ds_add_u64 v0, v[10:11]
	s_trap 2
.LBB2_913:                              ;   in Loop: Header=BB2_756 Depth=3
	s_or_b32 exec_lo, exec_lo, s16
	s_trap 2
	ds_load_b64 v[10:11], v0
	s_wait_dscnt 0x0
	v_add_nc_u64_e32 v[12:13], v[12:13], v[32:33]
	s_mov_b32 s16, exec_lo
	s_delay_alu instid0(VALU_DEP_1)
	v_cmpx_lt_u64_e64 v[10:11], v[12:13]
	s_cbranch_execz .LBB2_922
; %bb.914:                              ;   in Loop: Header=BB2_756 Depth=3
	s_mov_b32 s17, 0
	s_mov_b32 s73, 0
                                        ; implicit-def: $sgpr63
                                        ; implicit-def: $sgpr72
	s_branch .LBB2_916
.LBB2_915:                              ;   in Loop: Header=BB2_916 Depth=4
	s_or_b32 exec_lo, exec_lo, s75
	s_delay_alu instid0(SALU_CYCLE_1) | instskip(NEXT) | instid1(SALU_CYCLE_1)
	s_and_b32 s74, exec_lo, s76
	s_or_b32 s17, s74, s17
	s_and_not1_b32 s63, s63, exec_lo
	s_and_b32 s74, s72, exec_lo
	s_delay_alu instid0(SALU_CYCLE_1)
	s_or_b32 s63, s63, s74
	s_and_not1_b32 exec_lo, exec_lo, s17
	s_cbranch_execz .LBB2_920
.LBB2_916:                              ;   Parent Loop BB2_47 Depth=1
                                        ;     Parent Loop BB2_753 Depth=2
                                        ;       Parent Loop BB2_756 Depth=3
                                        ; =>      This Inner Loop Header: Depth=4
	s_add_co_i32 s73, s73, 1
	s_delay_alu instid0(SALU_CYCLE_1) | instskip(SKIP_1) | instid1(SALU_CYCLE_1)
	s_cmp_lg_u32 s73, 0x2710
	s_cselect_b32 s74, -1, 0
	s_and_b32 vcc_lo, exec_lo, s74
	s_cbranch_vccz .LBB2_918
; %bb.917:                              ;   in Loop: Header=BB2_916 Depth=4
	s_mov_b32 s76, -1
	s_or_b32 s72, s72, exec_lo
	s_and_saveexec_b32 s75, s74
	s_cbranch_execz .LBB2_915
	s_branch .LBB2_919
.LBB2_918:                              ;   in Loop: Header=BB2_916 Depth=4
	s_trap 2
	ds_load_b64 v[10:11], v0
	s_and_not1_b32 s74, s74, exec_lo
	s_mov_b32 s73, 0
	s_wait_storecnt 0x0
	s_wait_loadcnt_dscnt 0x0
	flat_load_b32 v9, v[10:11] scope:SCOPE_SYS
	s_wait_loadcnt_dscnt 0x0
	global_inv scope:SCOPE_SYS
	v_cmp_eq_u32_e32 vcc_lo, 0, v9
	s_and_b32 s75, vcc_lo, exec_lo
	s_delay_alu instid0(SALU_CYCLE_1)
	s_or_b32 s74, s74, s75
	s_mov_b32 s76, -1
	s_or_b32 s72, s72, exec_lo
	s_and_saveexec_b32 s75, s74
	s_cbranch_execz .LBB2_915
.LBB2_919:                              ;   in Loop: Header=BB2_916 Depth=4
	s_sleep 1
	s_trap 2
	ds_load_b64 v[10:11], v0
	s_wait_dscnt 0x0
	s_and_not1_b32 s72, s72, exec_lo
	v_cmp_ge_u64_e32 vcc_lo, v[10:11], v[12:13]
	s_or_not1_b32 s76, vcc_lo, exec_lo
	s_branch .LBB2_915
.LBB2_920:                              ;   in Loop: Header=BB2_756 Depth=3
	s_or_b32 exec_lo, exec_lo, s17
	s_and_saveexec_b32 s17, s63
	s_delay_alu instid0(SALU_CYCLE_1)
	s_xor_b32 s17, exec_lo, s17
	s_cbranch_execz .LBB2_922
; %bb.921:                              ;   in Loop: Header=BB2_756 Depth=3
	ds_store_b32 v0, v59
	s_trap 2
.LBB2_922:                              ;   in Loop: Header=BB2_756 Depth=3
	s_or_b32 exec_lo, exec_lo, s16
	;;#ASMSTART
	s_wakeup
	;;#ASMEND
.LBB2_923:                              ;   in Loop: Header=BB2_756 Depth=3
	s_or_b32 exec_lo, exec_lo, s15
.LBB2_924:                              ;   in Loop: Header=BB2_756 Depth=3
	s_and_not1_saveexec_b32 s14, s14
	s_cbranch_execz .LBB2_926
; %bb.925:                              ;   in Loop: Header=BB2_756 Depth=3
	;;#ASMSTART
	s_waitcnt lgkmcnt(0) vmcnt(0)
	;;#ASMEND
	s_barrier_signal -1
	s_barrier_wait -1
.LBB2_926:                              ;   in Loop: Header=BB2_756 Depth=3
	s_or_b32 exec_lo, exec_lo, s14
.LBB2_927:                              ;   in Loop: Header=BB2_756 Depth=3
	s_delay_alu instid0(SALU_CYCLE_1) | instskip(SKIP_2) | instid1(SALU_CYCLE_1)
	s_or_b32 exec_lo, exec_lo, s13
	v_cmp_ne_u32_e32 vcc_lo, 0, v8
	s_xor_b32 s13, s4, -1
	s_and_b32 s14, vcc_lo, s13
	s_delay_alu instid0(SALU_CYCLE_1)
	s_and_saveexec_b32 s13, s14
	s_cbranch_execz .LBB2_929
; %bb.928:                              ;   in Loop: Header=BB2_756 Depth=3
	global_wb scope:SCOPE_SYS
	s_wait_storecnt 0x0
	s_wait_loadcnt_dscnt 0x0
	flat_store_b32 v[26:27], v59 scope:SCOPE_SYS
.LBB2_929:                              ;   in Loop: Header=BB2_756 Depth=3
	s_wait_xcnt 0x0
	s_or_b32 exec_lo, exec_lo, s13
	v_and_b32_e32 v8, 48, v30
	s_mov_b32 s13, exec_lo
	s_delay_alu instid0(VALU_DEP_1)
	v_cmpx_ne_u32_e32 0, v8
	s_cbranch_execz .LBB2_755
; %bb.930:                              ;   in Loop: Header=BB2_756 Depth=3
	v_add_nc_u64_e32 v[86:87], 2, v[86:87]
	global_wb scope:SCOPE_SYS
	s_wait_storecnt 0x0
	s_wait_loadcnt_dscnt 0x0
	flat_store_b64 v[20:21], v[86:87] scope:SCOPE_SYS
	s_branch .LBB2_755
.LBB2_931:                              ;   in Loop: Header=BB2_753 Depth=2
	s_or_b32 exec_lo, exec_lo, s60
.LBB2_932:                              ;   in Loop: Header=BB2_753 Depth=2
	s_delay_alu instid0(SALU_CYCLE_1) | instskip(NEXT) | instid1(SALU_CYCLE_1)
	s_or_b32 exec_lo, exec_lo, s29
	s_mov_b32 s14, exec_lo
	v_cmpx_gt_i32_e32 2, v10
	s_cbranch_execz .LBB2_1008
; %bb.933:                              ;   in Loop: Header=BB2_753 Depth=2
	v_cmp_eq_u32_e64 s16, 0, v10
	s_mov_b32 s15, 0
	s_branch .LBB2_935
.LBB2_934:                              ;   in Loop: Header=BB2_935 Depth=3
	s_wait_xcnt 0x0
	s_or_b32 exec_lo, exec_lo, s13
	v_add_nc_u32_e32 v102, v100, v102
	s_mov_b32 s16, 0
	s_and_not1_b32 exec_lo, exec_lo, s15
	s_cbranch_execz .LBB2_1007
.LBB2_935:                              ;   Parent Loop BB2_47 Depth=1
                                        ;     Parent Loop BB2_753 Depth=2
                                        ; =>    This Loop Header: Depth=3
                                        ;         Child Loop BB2_941 Depth 4
                                        ;         Child Loop BB2_969 Depth 4
	;; [unrolled: 1-line block ×3, first 2 shown]
	s_delay_alu instid0(VALU_DEP_1) | instskip(SKIP_2) | instid1(VALU_DEP_2)
	v_sub_nc_u32_e32 v8, v3, v102
	v_and_b32_e32 v9, 12, v30
	s_mov_b32 s17, exec_lo
	v_min_i32_e32 v100, v100, v8
	s_delay_alu instid0(VALU_DEP_2)
	v_cmpx_ne_u32_e32 0, v9
	s_cbranch_execz .LBB2_961
; %bb.936:                              ;   in Loop: Header=BB2_935 Depth=3
	v_dual_mov_b32 v11, v2 :: v_dual_bitop2_b32 v10, 8, v30 bitop3:0x40
	v_add_nc_u64_e32 v[8:9], 2, v[86:87]
	s_mov_b32 s29, exec_lo
	s_wait_loadcnt_dscnt 0x1
	s_delay_alu instid0(VALU_DEP_2) | instskip(NEXT) | instid1(VALU_DEP_1)
	v_add_nc_u64_e32 v[112:113], v[28:29], v[10:11]
	v_cmpx_lt_u64_e64 v[112:113], v[8:9]
	s_cbranch_execz .LBB2_948
; %bb.937:                              ;   in Loop: Header=BB2_935 Depth=3
	v_and_b32_e32 v28, 64, v30
	s_mov_b32 s60, 0
	s_mov_b32 s72, 0
                                        ; implicit-def: $sgpr61
                                        ; implicit-def: $sgpr62
                                        ; implicit-def: $sgpr63
	s_delay_alu instid0(VALU_DEP_1)
	v_cmp_eq_u32_e32 vcc_lo, 0, v28
	s_branch .LBB2_941
.LBB2_938:                              ;   in Loop: Header=BB2_941 Depth=4
	s_wait_loadcnt_dscnt 0x0
	v_add_nc_u64_e32 v[112:113], v[28:29], v[10:11]
	s_or_b32 s75, s75, exec_lo
	s_delay_alu instid0(VALU_DEP_1)
	v_cmp_ge_u64_e64 s13, v[112:113], v[8:9]
	s_or_not1_b32 s74, s13, exec_lo
.LBB2_939:                              ;   in Loop: Header=BB2_941 Depth=4
	s_or_b32 exec_lo, exec_lo, s77
	s_delay_alu instid0(SALU_CYCLE_1)
	s_and_not1_b32 s13, s63, exec_lo
	s_and_b32 s63, s75, exec_lo
	s_and_not1_b32 s62, s62, exec_lo
	s_and_b32 s74, s74, exec_lo
	s_or_b32 s63, s13, s63
	s_or_b32 s62, s62, s74
.LBB2_940:                              ;   in Loop: Header=BB2_941 Depth=4
	s_or_b32 exec_lo, exec_lo, s73
	s_delay_alu instid0(SALU_CYCLE_1) | instskip(NEXT) | instid1(SALU_CYCLE_1)
	s_and_b32 s13, exec_lo, s62
	s_or_b32 s60, s13, s60
	s_and_not1_b32 s13, s61, exec_lo
	s_and_b32 s61, s63, exec_lo
	s_delay_alu instid0(SALU_CYCLE_1)
	s_or_b32 s61, s13, s61
	s_and_not1_b32 exec_lo, exec_lo, s60
	s_cbranch_execz .LBB2_945
.LBB2_941:                              ;   Parent Loop BB2_47 Depth=1
                                        ;     Parent Loop BB2_753 Depth=2
                                        ;       Parent Loop BB2_935 Depth=3
                                        ; =>      This Inner Loop Header: Depth=4
	s_sleep 1
	s_wait_loadcnt_dscnt 0x0
	flat_load_b64 v[28:29], v[20:21] scope:SCOPE_SYS
	s_or_b32 s63, s63, exec_lo
	s_or_b32 s62, s62, exec_lo
                                        ; implicit-def: $vgpr87
	s_wait_xcnt 0x0
	s_and_saveexec_b32 s73, vcc_lo
	s_cbranch_execz .LBB2_940
; %bb.942:                              ;   in Loop: Header=BB2_941 Depth=4
	s_cmp_lt_i32 s72, 0x270f
	s_mov_b32 s74, -1
	s_cselect_b32 s76, -1, 0
	s_cmp_gt_i32 s72, 0x270e
	s_cbranch_scc0 .LBB2_944
; %bb.943:                              ;   in Loop: Header=BB2_941 Depth=4
	s_trap 2
	ds_load_b64 v[112:113], v0
	s_and_not1_b32 s72, s76, exec_lo
	s_mov_b32 s75, 0
	s_wait_storecnt 0x0
	s_wait_loadcnt_dscnt 0x0
	flat_load_b32 v87, v[112:113] scope:SCOPE_SYS
	s_wait_loadcnt_dscnt 0x0
	global_inv scope:SCOPE_SYS
	v_cmp_eq_u32_e64 s13, 0, v87
	s_and_b32 s13, s13, exec_lo
	s_delay_alu instid0(SALU_CYCLE_1)
	s_or_b32 s76, s72, s13
	s_mov_b32 s72, 0
	s_and_saveexec_b32 s77, s76
	s_cbranch_execz .LBB2_939
	s_branch .LBB2_938
.LBB2_944:                              ;   in Loop: Header=BB2_941 Depth=4
	s_add_co_i32 s72, s72, 1
	s_mov_b32 s75, -1
                                        ; implicit-def: $vgpr87
	s_and_saveexec_b32 s77, s76
	s_cbranch_execz .LBB2_939
	s_branch .LBB2_938
.LBB2_945:                              ;   in Loop: Header=BB2_935 Depth=3
	s_or_b32 exec_lo, exec_lo, s60
	s_xor_b32 s13, s61, -1
	s_delay_alu instid0(SALU_CYCLE_1) | instskip(NEXT) | instid1(SALU_CYCLE_1)
	s_and_saveexec_b32 s60, s13
	s_xor_b32 s13, exec_lo, s60
	s_cbranch_execz .LBB2_947
; %bb.946:                              ;   in Loop: Header=BB2_935 Depth=3
	v_or_b32_e32 v30, 64, v30
	s_wait_storecnt 0x0
	s_wait_loadcnt_dscnt 0x0
	ds_store_b32 v0, v87
	s_trap 2
.LBB2_947:                              ;   in Loop: Header=BB2_935 Depth=3
	s_or_b32 exec_lo, exec_lo, s13
.LBB2_948:                              ;   in Loop: Header=BB2_935 Depth=3
	s_delay_alu instid0(SALU_CYCLE_1) | instskip(SKIP_3) | instid1(VALU_DEP_1)
	s_or_b32 exec_lo, exec_lo, s29
	v_and_b32_e32 v11, 0x108, v30
	s_mov_b32 s13, exec_lo
	;;#ASMSTART
	s_wakeup
	;;#ASMEND
                                        ; implicit-def: $vgpr112_vgpr113
	v_cmpx_ne_u32_e32 0x108, v11
	s_xor_b32 s13, exec_lo, s13
; %bb.949:                              ;   in Loop: Header=BB2_935 Depth=3
	v_dual_mov_b32 v113, v2 :: v_dual_bitop2_b32 v112, 7, v86 bitop3:0x40
                                        ; implicit-def: $vgpr86_vgpr87
; %bb.950:                              ;   in Loop: Header=BB2_935 Depth=3
	s_and_not1_saveexec_b32 s13, s13
	s_cbranch_execz .LBB2_952
; %bb.951:                              ;   in Loop: Header=BB2_935 Depth=3
	v_dual_ashrrev_i32 v101, 31, v100 :: v_dual_bitop2_b32 v112, 7, v86 bitop3:0x40
	v_mov_b32_e32 v113, v2
	s_delay_alu instid0(VALU_DEP_2) | instskip(NEXT) | instid1(VALU_DEP_3)
	v_mad_nc_u64_u32 v[86:87], v112, 24, v[6:7]
	v_lshlrev_b64_e32 v[114:115], 2, v[100:101]
	flat_store_b64 v[86:87], v[114:115] offset:8
.LBB2_952:                              ;   in Loop: Header=BB2_935 Depth=3
	s_wait_xcnt 0x0
	s_or_b32 exec_lo, exec_lo, s13
	v_and_b32_e32 v11, 0x100, v30
	s_mov_b32 s13, -1
	s_mov_b32 s29, exec_lo
                                        ; implicit-def: $vgpr86_vgpr87
	s_delay_alu instid0(VALU_DEP_1)
	v_cmpx_ne_u32_e32 0, v11
	s_cbranch_execz .LBB2_956
; %bb.953:                              ;   in Loop: Header=BB2_935 Depth=3
	v_mad_nc_u64_u32 v[114:115], v112, 24, v[6:7]
	s_mov_b32 s60, exec_lo
                                        ; implicit-def: $vgpr86_vgpr87
	s_delay_alu instid0(VALU_DEP_1)
	v_mad_u32 v115, v113, 24, v115
	flat_load_b32 v11, v[114:115]
	s_wait_loadcnt_dscnt 0x0
	v_cmp_ne_u32_e32 vcc_lo, 1, v11
	s_wait_xcnt 0x0
	v_cmpx_eq_u32_e32 1, v11
	s_cbranch_execz .LBB2_955
; %bb.954:                              ;   in Loop: Header=BB2_935 Depth=3
	flat_load_b32 v86, v[114:115] offset:4 scope:SCOPE_SYS
	s_wait_loadcnt_dscnt 0x0
	v_ashrrev_i32_e32 v87, 31, v86
	s_delay_alu instid0(VALU_DEP_1)
	v_lshrrev_b64 v[86:87], 2, v[86:87]
.LBB2_955:                              ;   in Loop: Header=BB2_935 Depth=3
	s_wait_xcnt 0x0
	s_or_b32 exec_lo, exec_lo, s60
	s_delay_alu instid0(SALU_CYCLE_1)
	s_or_not1_b32 s13, vcc_lo, exec_lo
.LBB2_956:                              ;   in Loop: Header=BB2_935 Depth=3
	s_or_b32 exec_lo, exec_lo, s29
	s_and_saveexec_b32 s29, s13
; %bb.957:                              ;   in Loop: Header=BB2_935 Depth=3
	v_mul_u64_e32 v[86:87], v[112:113], v[22:23]
; %bb.958:                              ;   in Loop: Header=BB2_935 Depth=3
	s_or_b32 exec_lo, exec_lo, s29
	v_cmp_eq_u32_e32 vcc_lo, 0, v10
	v_and_b32_e32 v103, 0x2000, v30
	s_delay_alu instid0(VALU_DEP_3) | instskip(SKIP_2) | instid1(VALU_DEP_1)
	v_lshl_add_u64 v[10:11], v[86:87], 2, v[24:25]
	s_mov_b32 s13, exec_lo
	v_cndmask_b32_e32 v101, 0xd0, v61, vcc_lo
	v_add_nc_u32_e32 v86, v0, v101
	ds_store_b64 v86, v[10:11] offset:584
	v_cmpx_ne_u32_e32 0, v103
	s_cbranch_execz .LBB2_960
; %bb.959:                              ;   in Loop: Header=BB2_935 Depth=3
	ds_load_b64 v[10:11], v0 offset:872
	s_wait_dscnt 0x0
	v_add_nc_u64_e32 v[10:11], 1, v[10:11]
	ds_store_b64 v0, v[10:11] offset:872
.LBB2_960:                              ;   in Loop: Header=BB2_935 Depth=3
	s_or_b32 exec_lo, exec_lo, s13
	v_mov_b64_e32 v[86:87], v[8:9]
.LBB2_961:                              ;   in Loop: Header=BB2_935 Depth=3
	s_or_b32 exec_lo, exec_lo, s17
	s_xor_b32 s13, s16, -1
	s_delay_alu instid0(SALU_CYCLE_1) | instskip(NEXT) | instid1(SALU_CYCLE_1)
	s_and_b32 s13, exec_lo, s13
	s_or_b32 s15, s13, s15
	s_and_saveexec_b32 s13, s2
	s_cbranch_execz .LBB2_980
; %bb.962:                              ;   in Loop: Header=BB2_935 Depth=3
	s_and_saveexec_b32 s16, s3
	s_delay_alu instid0(SALU_CYCLE_1)
	s_xor_b32 s16, exec_lo, s16
	s_cbranch_execz .LBB2_977
; %bb.963:                              ;   in Loop: Header=BB2_935 Depth=3
	s_and_saveexec_b32 s17, s6
	s_cbranch_execz .LBB2_976
; %bb.964:                              ;   in Loop: Header=BB2_935 Depth=3
	s_mov_b32 s60, exec_lo
	s_mov_b32 s29, exec_lo
	v_mbcnt_lo_u32_b32 v8, s60, 0
	global_wb scope:SCOPE_DEV
	s_wait_storecnt 0x0
	s_wait_loadcnt_dscnt 0x0
	global_inv scope:SCOPE_DEV
	v_cmpx_eq_u32_e32 0, v8
	s_cbranch_execz .LBB2_966
; %bb.965:                              ;   in Loop: Header=BB2_935 Depth=3
	s_bcnt1_i32_b32 s60, s60
	s_delay_alu instid0(SALU_CYCLE_1)
	v_dual_mov_b32 v9, v2 :: v_dual_mov_b32 v8, s60
	s_wait_loadcnt 0x0
	ds_add_u64 v0, v[8:9]
	s_trap 2
.LBB2_966:                              ;   in Loop: Header=BB2_935 Depth=3
	s_or_b32 exec_lo, exec_lo, s29
	s_trap 2
	ds_load_b64 v[8:9], v0
	s_wait_dscnt 0x0
	v_add_nc_u64_e32 v[12:13], v[12:13], v[32:33]
	s_mov_b32 s29, exec_lo
	s_delay_alu instid0(VALU_DEP_1)
	v_cmpx_lt_u64_e64 v[8:9], v[12:13]
	s_cbranch_execz .LBB2_975
; %bb.967:                              ;   in Loop: Header=BB2_935 Depth=3
	s_mov_b32 s60, 0
	s_mov_b32 s63, 0
                                        ; implicit-def: $sgpr61
                                        ; implicit-def: $sgpr62
	s_branch .LBB2_969
.LBB2_968:                              ;   in Loop: Header=BB2_969 Depth=4
	s_or_b32 exec_lo, exec_lo, s73
	s_delay_alu instid0(SALU_CYCLE_1) | instskip(NEXT) | instid1(SALU_CYCLE_1)
	s_and_b32 s72, exec_lo, s74
	s_or_b32 s60, s72, s60
	s_and_not1_b32 s61, s61, exec_lo
	s_and_b32 s72, s62, exec_lo
	s_delay_alu instid0(SALU_CYCLE_1)
	s_or_b32 s61, s61, s72
	s_and_not1_b32 exec_lo, exec_lo, s60
	s_cbranch_execz .LBB2_973
.LBB2_969:                              ;   Parent Loop BB2_47 Depth=1
                                        ;     Parent Loop BB2_753 Depth=2
                                        ;       Parent Loop BB2_935 Depth=3
                                        ; =>      This Inner Loop Header: Depth=4
	s_add_co_i32 s63, s63, 1
	s_delay_alu instid0(SALU_CYCLE_1) | instskip(SKIP_1) | instid1(SALU_CYCLE_1)
	s_cmp_lg_u32 s63, 0x2710
	s_cselect_b32 s72, -1, 0
	s_and_b32 vcc_lo, exec_lo, s72
	s_cbranch_vccz .LBB2_971
; %bb.970:                              ;   in Loop: Header=BB2_969 Depth=4
	s_mov_b32 s74, -1
	s_or_b32 s62, s62, exec_lo
	s_and_saveexec_b32 s73, s72
	s_cbranch_execz .LBB2_968
	s_branch .LBB2_972
.LBB2_971:                              ;   in Loop: Header=BB2_969 Depth=4
	s_trap 2
	ds_load_b64 v[8:9], v0
	s_and_not1_b32 s72, s72, exec_lo
	s_mov_b32 s63, 0
	s_wait_loadcnt_dscnt 0x0
	flat_load_b32 v8, v[8:9] scope:SCOPE_SYS
	s_wait_loadcnt_dscnt 0x0
	global_inv scope:SCOPE_SYS
	v_cmp_eq_u32_e32 vcc_lo, 0, v8
	s_and_b32 s73, vcc_lo, exec_lo
	s_delay_alu instid0(SALU_CYCLE_1)
	s_or_b32 s72, s72, s73
	s_mov_b32 s74, -1
	s_or_b32 s62, s62, exec_lo
	s_and_saveexec_b32 s73, s72
	s_cbranch_execz .LBB2_968
.LBB2_972:                              ;   in Loop: Header=BB2_969 Depth=4
	s_sleep 1
	s_trap 2
	ds_load_b64 v[8:9], v0
	s_wait_dscnt 0x0
	s_and_not1_b32 s62, s62, exec_lo
	v_cmp_ge_u64_e32 vcc_lo, v[8:9], v[12:13]
	s_or_not1_b32 s74, vcc_lo, exec_lo
	s_branch .LBB2_968
.LBB2_973:                              ;   in Loop: Header=BB2_935 Depth=3
	s_or_b32 exec_lo, exec_lo, s60
	s_and_saveexec_b32 s60, s61
	s_delay_alu instid0(SALU_CYCLE_1)
	s_xor_b32 s60, exec_lo, s60
	s_cbranch_execz .LBB2_975
; %bb.974:                              ;   in Loop: Header=BB2_935 Depth=3
	ds_store_b32 v0, v59
	s_trap 2
.LBB2_975:                              ;   in Loop: Header=BB2_935 Depth=3
	s_or_b32 exec_lo, exec_lo, s29
	;;#ASMSTART
	s_wakeup
	;;#ASMEND
.LBB2_976:                              ;   in Loop: Header=BB2_935 Depth=3
	s_or_b32 exec_lo, exec_lo, s17
.LBB2_977:                              ;   in Loop: Header=BB2_935 Depth=3
	s_and_not1_saveexec_b32 s16, s16
	s_cbranch_execz .LBB2_979
; %bb.978:                              ;   in Loop: Header=BB2_935 Depth=3
	global_wb scope:SCOPE_DEV
	s_wait_storecnt 0x0
	s_wait_loadcnt_dscnt 0x0
	global_inv scope:SCOPE_DEV
	s_barrier_signal -1
	s_barrier_wait -1
.LBB2_979:                              ;   in Loop: Header=BB2_935 Depth=3
	s_or_b32 exec_lo, exec_lo, s16
.LBB2_980:                              ;   in Loop: Header=BB2_935 Depth=3
	s_delay_alu instid0(SALU_CYCLE_1) | instskip(SKIP_2) | instid1(SALU_CYCLE_1)
	s_or_b32 exec_lo, exec_lo, s13
	v_and_b32_e32 v8, 16, v30
	s_and_saveexec_b32 s13, s12
	s_xor_b32 s16, exec_lo, s13
	s_cbranch_execz .LBB2_984
; %bb.981:                              ;   in Loop: Header=BB2_935 Depth=3
	s_trap 2
	ds_load_b32 v8, v0
	v_cmp_lt_i32_e32 vcc_lo, 0, v100
	s_wait_dscnt 0x0
	v_readfirstlane_b32 s13, v8
	v_and_b32_e32 v8, 16, v30
	s_cmp_eq_u32 s13, 0
	s_delay_alu instid0(VALU_DEP_1) | instskip(SKIP_3) | instid1(SALU_CYCLE_1)
	v_cmp_ne_u32_e64 s13, 0, v8
	s_cselect_b32 s17, -1, 0
	v_and_b32_e32 v8, 16, v30
	s_and_b32 s17, vcc_lo, s17
	s_and_b32 s17, s13, s17
	s_delay_alu instid0(SALU_CYCLE_1)
	s_and_saveexec_b32 s13, s17
	s_cbranch_execz .LBB2_983
; %bb.982:                              ;   in Loop: Header=BB2_935 Depth=3
	v_mov_b32_e32 v8, 1
	global_wb scope:SCOPE_SYS
	s_wait_loadcnt 0x0
	s_wait_storecnt 0x0
	global_inv scope:SCOPE_SYS
.LBB2_983:                              ;   in Loop: Header=BB2_935 Depth=3
	s_or_b32 exec_lo, exec_lo, s13
.LBB2_984:                              ;   in Loop: Header=BB2_935 Depth=3
	s_and_not1_saveexec_b32 s13, s16
	s_cbranch_execz .LBB2_1003
; %bb.985:                              ;   in Loop: Header=BB2_935 Depth=3
	s_and_saveexec_b32 s16, s3
	s_delay_alu instid0(SALU_CYCLE_1)
	s_xor_b32 s16, exec_lo, s16
	s_cbranch_execz .LBB2_1000
; %bb.986:                              ;   in Loop: Header=BB2_935 Depth=3
	s_and_saveexec_b32 s17, s6
	s_cbranch_execz .LBB2_999
; %bb.987:                              ;   in Loop: Header=BB2_935 Depth=3
	s_mov_b32 s60, exec_lo
	s_mov_b32 s29, exec_lo
	v_mbcnt_lo_u32_b32 v9, s60, 0
	;;#ASMSTART
	s_waitcnt lgkmcnt(0) vmcnt(0)
	;;#ASMEND
	s_delay_alu instid0(VALU_DEP_1)
	v_cmpx_eq_u32_e32 0, v9
	s_cbranch_execz .LBB2_989
; %bb.988:                              ;   in Loop: Header=BB2_935 Depth=3
	s_bcnt1_i32_b32 s60, s60
	s_delay_alu instid0(SALU_CYCLE_1)
	v_dual_mov_b32 v11, v2 :: v_dual_mov_b32 v10, s60
	s_wait_storecnt 0x0
	s_wait_loadcnt_dscnt 0x0
	ds_add_u64 v0, v[10:11]
	s_trap 2
.LBB2_989:                              ;   in Loop: Header=BB2_935 Depth=3
	s_or_b32 exec_lo, exec_lo, s29
	s_trap 2
	ds_load_b64 v[10:11], v0
	s_wait_dscnt 0x0
	v_add_nc_u64_e32 v[12:13], v[12:13], v[32:33]
	s_mov_b32 s29, exec_lo
	s_delay_alu instid0(VALU_DEP_1)
	v_cmpx_lt_u64_e64 v[10:11], v[12:13]
	s_cbranch_execz .LBB2_998
; %bb.990:                              ;   in Loop: Header=BB2_935 Depth=3
	s_mov_b32 s60, 0
	s_mov_b32 s63, 0
                                        ; implicit-def: $sgpr61
                                        ; implicit-def: $sgpr62
	s_branch .LBB2_992
.LBB2_991:                              ;   in Loop: Header=BB2_992 Depth=4
	s_or_b32 exec_lo, exec_lo, s73
	s_delay_alu instid0(SALU_CYCLE_1) | instskip(NEXT) | instid1(SALU_CYCLE_1)
	s_and_b32 s72, exec_lo, s74
	s_or_b32 s60, s72, s60
	s_and_not1_b32 s61, s61, exec_lo
	s_and_b32 s72, s62, exec_lo
	s_delay_alu instid0(SALU_CYCLE_1)
	s_or_b32 s61, s61, s72
	s_and_not1_b32 exec_lo, exec_lo, s60
	s_cbranch_execz .LBB2_996
.LBB2_992:                              ;   Parent Loop BB2_47 Depth=1
                                        ;     Parent Loop BB2_753 Depth=2
                                        ;       Parent Loop BB2_935 Depth=3
                                        ; =>      This Inner Loop Header: Depth=4
	s_add_co_i32 s63, s63, 1
	s_delay_alu instid0(SALU_CYCLE_1) | instskip(SKIP_1) | instid1(SALU_CYCLE_1)
	s_cmp_lg_u32 s63, 0x2710
	s_cselect_b32 s72, -1, 0
	s_and_b32 vcc_lo, exec_lo, s72
	s_cbranch_vccz .LBB2_994
; %bb.993:                              ;   in Loop: Header=BB2_992 Depth=4
	s_mov_b32 s74, -1
	s_or_b32 s62, s62, exec_lo
	s_and_saveexec_b32 s73, s72
	s_cbranch_execz .LBB2_991
	s_branch .LBB2_995
.LBB2_994:                              ;   in Loop: Header=BB2_992 Depth=4
	s_trap 2
	ds_load_b64 v[10:11], v0
	s_and_not1_b32 s72, s72, exec_lo
	s_mov_b32 s63, 0
	s_wait_storecnt 0x0
	s_wait_loadcnt_dscnt 0x0
	flat_load_b32 v9, v[10:11] scope:SCOPE_SYS
	s_wait_loadcnt_dscnt 0x0
	global_inv scope:SCOPE_SYS
	v_cmp_eq_u32_e32 vcc_lo, 0, v9
	s_and_b32 s73, vcc_lo, exec_lo
	s_delay_alu instid0(SALU_CYCLE_1)
	s_or_b32 s72, s72, s73
	s_mov_b32 s74, -1
	s_or_b32 s62, s62, exec_lo
	s_and_saveexec_b32 s73, s72
	s_cbranch_execz .LBB2_991
.LBB2_995:                              ;   in Loop: Header=BB2_992 Depth=4
	s_sleep 1
	s_trap 2
	ds_load_b64 v[10:11], v0
	s_wait_dscnt 0x0
	s_and_not1_b32 s62, s62, exec_lo
	v_cmp_ge_u64_e32 vcc_lo, v[10:11], v[12:13]
	s_or_not1_b32 s74, vcc_lo, exec_lo
	s_branch .LBB2_991
.LBB2_996:                              ;   in Loop: Header=BB2_935 Depth=3
	s_or_b32 exec_lo, exec_lo, s60
	s_and_saveexec_b32 s60, s61
	s_delay_alu instid0(SALU_CYCLE_1)
	s_xor_b32 s60, exec_lo, s60
	s_cbranch_execz .LBB2_998
; %bb.997:                              ;   in Loop: Header=BB2_935 Depth=3
	ds_store_b32 v0, v59
	s_trap 2
.LBB2_998:                              ;   in Loop: Header=BB2_935 Depth=3
	s_or_b32 exec_lo, exec_lo, s29
	;;#ASMSTART
	s_wakeup
	;;#ASMEND
.LBB2_999:                              ;   in Loop: Header=BB2_935 Depth=3
	s_or_b32 exec_lo, exec_lo, s17
.LBB2_1000:                             ;   in Loop: Header=BB2_935 Depth=3
	s_and_not1_saveexec_b32 s16, s16
	s_cbranch_execz .LBB2_1002
; %bb.1001:                             ;   in Loop: Header=BB2_935 Depth=3
	;;#ASMSTART
	s_waitcnt lgkmcnt(0) vmcnt(0)
	;;#ASMEND
	s_barrier_signal -1
	s_barrier_wait -1
.LBB2_1002:                             ;   in Loop: Header=BB2_935 Depth=3
	s_or_b32 exec_lo, exec_lo, s16
.LBB2_1003:                             ;   in Loop: Header=BB2_935 Depth=3
	s_delay_alu instid0(SALU_CYCLE_1) | instskip(SKIP_2) | instid1(SALU_CYCLE_1)
	s_or_b32 exec_lo, exec_lo, s13
	v_cmp_ne_u32_e32 vcc_lo, 0, v8
	s_xor_b32 s13, s4, -1
	s_and_b32 s16, vcc_lo, s13
	s_delay_alu instid0(SALU_CYCLE_1)
	s_and_saveexec_b32 s13, s16
	s_cbranch_execz .LBB2_1005
; %bb.1004:                             ;   in Loop: Header=BB2_935 Depth=3
	global_wb scope:SCOPE_SYS
	s_wait_storecnt 0x0
	s_wait_loadcnt_dscnt 0x0
	flat_store_b32 v[26:27], v59 scope:SCOPE_SYS
.LBB2_1005:                             ;   in Loop: Header=BB2_935 Depth=3
	s_wait_xcnt 0x0
	s_or_b32 exec_lo, exec_lo, s13
	v_and_b32_e32 v8, 48, v30
	s_mov_b32 s13, exec_lo
	s_delay_alu instid0(VALU_DEP_1)
	v_cmpx_ne_u32_e32 0, v8
	s_cbranch_execz .LBB2_934
; %bb.1006:                             ;   in Loop: Header=BB2_935 Depth=3
	v_add_nc_u64_e32 v[86:87], 2, v[86:87]
	global_wb scope:SCOPE_SYS
	s_wait_storecnt 0x0
	s_wait_loadcnt_dscnt 0x0
	flat_store_b64 v[20:21], v[86:87] scope:SCOPE_SYS
	s_branch .LBB2_934
.LBB2_1007:                             ;   in Loop: Header=BB2_753 Depth=2
	s_or_b32 exec_lo, exec_lo, s15
.LBB2_1008:                             ;   in Loop: Header=BB2_753 Depth=2
	s_delay_alu instid0(SALU_CYCLE_1)
	s_or_b32 exec_lo, exec_lo, s14
	s_add_co_i32 s13, s20, 1
	s_cmp_eq_u32 s20, s56
	s_cbranch_scc1 .LBB2_1010
; %bb.1009:                             ;   in Loop: Header=BB2_753 Depth=2
	s_mov_b32 s20, s13
	s_branch .LBB2_753
.LBB2_1010:                             ;   in Loop: Header=BB2_47 Depth=1
	v_mul_u64_e32 v[10:11], s[40:41], v[84:85]
	s_delay_alu instid0(VALU_DEP_1) | instskip(NEXT) | instid1(VALU_DEP_1)
	v_sub_nc_u64_e32 v[8:9], v[96:97], v[10:11]
	v_min_i64 v[8:9], v[84:85], v[8:9]
	s_delay_alu instid0(VALU_DEP_1) | instskip(SKIP_1) | instid1(VALU_DEP_2)
	v_max_i32_e32 v3, 0, v8
	v_cmp_lt_i32_e32 vcc_lo, 0, v8
	v_dual_mov_b32 v8, 0 :: v_dual_add_nc_u32 v9, 31, v3
	s_and_b32 s13, s57, vcc_lo
	s_delay_alu instid0(VALU_DEP_1) | instskip(NEXT) | instid1(VALU_DEP_1)
	v_lshrrev_b32_e32 v9, 1, v9
	v_and_b32_e32 v96, 0x3ffffff0, v9
	s_delay_alu instid0(VALU_DEP_1)
	v_dual_mov_b32 v9, 0 :: v_dual_max_i32 v102, s45, v96
	s_and_saveexec_b32 s14, s13
	s_cbranch_execz .LBB2_1148
; %bb.1011:                             ;   in Loop: Header=BB2_47 Depth=1
	v_add_nc_u64_e32 v[8:9], v[10:11], v[98:99]
	s_mov_b32 s17, 1
	s_mov_b32 s16, -1
	s_mov_b32 s15, 0
	s_delay_alu instid0(VALU_DEP_1)
	v_lshlrev_b64_e32 v[10:11], 2, v[8:9]
	v_mov_b32_e32 v8, 0
	s_branch .LBB2_1013
.LBB2_1012:                             ;   in Loop: Header=BB2_1013 Depth=2
	s_wait_xcnt 0x0
	s_or_b32 exec_lo, exec_lo, s13
	v_dual_mov_b32 v9, s17 :: v_dual_add_nc_u32 v8, v102, v8
	s_xor_b32 s13, s16, -1
	s_mov_b32 s16, 0
	s_mov_b32 s17, 2
	s_delay_alu instid0(VALU_DEP_1) | instskip(SKIP_1) | instid1(SALU_CYCLE_1)
	v_cmp_ge_i32_e32 vcc_lo, v8, v3
	s_or_b32 s13, s13, vcc_lo
	s_and_b32 s13, exec_lo, s13
	s_delay_alu instid0(SALU_CYCLE_1) | instskip(NEXT) | instid1(SALU_CYCLE_1)
	s_or_b32 s15, s13, s15
	s_and_not1_b32 exec_lo, exec_lo, s15
	s_cbranch_execz .LBB2_1147
.LBB2_1013:                             ;   Parent Loop BB2_47 Depth=1
                                        ; =>  This Loop Header: Depth=2
                                        ;       Child Loop BB2_1021 Depth 3
                                        ;       Child Loop BB2_1045 Depth 3
	;; [unrolled: 1-line block ×9, first 2 shown]
	s_and_saveexec_b32 s13, s0
	s_cbranch_execz .LBB2_1015
; %bb.1014:                             ;   in Loop: Header=BB2_1013 Depth=2
	s_trap 2
	ds_load_b128 v[96:99], v0
	s_wait_dscnt 0x0
	v_cmp_ne_u64_e32 vcc_lo, 0, v[98:99]
	v_ashrrev_i32_e32 v9, 31, v8
	v_add_nc_u64_e32 v[112:113], v[98:99], v[10:11]
	v_add_nc_u64_e32 v[96:97], v[96:97], v[10:11]
	s_delay_alu instid0(VALU_DEP_3) | instskip(NEXT) | instid1(VALU_DEP_1)
	v_lshlrev_b64_e32 v[100:101], 2, v[8:9]
	v_add_nc_u64_e32 v[112:113], v[112:113], v[100:101]
	s_delay_alu instid0(VALU_DEP_3) | instskip(NEXT) | instid1(VALU_DEP_2)
	v_add_nc_u64_e32 v[96:97], v[96:97], v[100:101]
	v_dual_cndmask_b32 v99, 0, v113 :: v_dual_cndmask_b32 v98, 0, v112
	ds_store_b64 v0, v[96:97]
	ds_store_b64 v0, v[98:99]
.LBB2_1015:                             ;   in Loop: Header=BB2_1013 Depth=2
	s_or_b32 exec_lo, exec_lo, s13
	v_and_b32_e32 v9, 4, v30
	s_mov_b32 s20, exec_lo
	s_delay_alu instid0(VALU_DEP_1)
	v_cmpx_ne_u32_e32 0, v9
	s_cbranch_execz .LBB2_1037
; %bb.1016:                             ;   in Loop: Header=BB2_1013 Depth=2
	v_add_nc_u64_e32 v[96:97], 2, v[86:87]
	s_mov_b32 s29, exec_lo
	s_wait_loadcnt_dscnt 0x1
	s_delay_alu instid0(VALU_DEP_1)
	v_cmpx_lt_u64_e64 v[28:29], v[96:97]
	s_cbranch_execz .LBB2_1028
; %bb.1017:                             ;   in Loop: Header=BB2_1013 Depth=2
	v_and_b32_e32 v9, 64, v30
	s_mov_b32 s60, 0
	s_mov_b32 s72, 0
                                        ; implicit-def: $sgpr61
                                        ; implicit-def: $sgpr62
                                        ; implicit-def: $sgpr63
	s_delay_alu instid0(VALU_DEP_1)
	v_cmp_eq_u32_e32 vcc_lo, 0, v9
	s_branch .LBB2_1021
.LBB2_1018:                             ;   in Loop: Header=BB2_1021 Depth=3
	s_wait_loadcnt_dscnt 0x0
	v_cmp_ge_u64_e64 s13, v[28:29], v[96:97]
	s_or_b32 s75, s75, exec_lo
	s_or_not1_b32 s74, s13, exec_lo
.LBB2_1019:                             ;   in Loop: Header=BB2_1021 Depth=3
	s_or_b32 exec_lo, exec_lo, s77
	s_delay_alu instid0(SALU_CYCLE_1)
	s_and_not1_b32 s13, s63, exec_lo
	s_and_b32 s63, s75, exec_lo
	s_and_not1_b32 s62, s62, exec_lo
	s_and_b32 s74, s74, exec_lo
	s_or_b32 s63, s13, s63
	s_or_b32 s62, s62, s74
.LBB2_1020:                             ;   in Loop: Header=BB2_1021 Depth=3
	s_or_b32 exec_lo, exec_lo, s73
	s_delay_alu instid0(SALU_CYCLE_1) | instskip(NEXT) | instid1(SALU_CYCLE_1)
	s_and_b32 s13, exec_lo, s62
	s_or_b32 s60, s13, s60
	s_and_not1_b32 s13, s61, exec_lo
	s_and_b32 s61, s63, exec_lo
	s_delay_alu instid0(SALU_CYCLE_1)
	s_or_b32 s61, s13, s61
	s_and_not1_b32 exec_lo, exec_lo, s60
	s_cbranch_execz .LBB2_1025
.LBB2_1021:                             ;   Parent Loop BB2_47 Depth=1
                                        ;     Parent Loop BB2_1013 Depth=2
                                        ; =>    This Inner Loop Header: Depth=3
	s_sleep 1
	s_wait_loadcnt_dscnt 0x0
	flat_load_b64 v[28:29], v[20:21] scope:SCOPE_SYS
	s_or_b32 s63, s63, exec_lo
	s_or_b32 s62, s62, exec_lo
                                        ; implicit-def: $vgpr9
	s_wait_xcnt 0x0
	s_and_saveexec_b32 s73, vcc_lo
	s_cbranch_execz .LBB2_1020
; %bb.1022:                             ;   in Loop: Header=BB2_1021 Depth=3
	s_cmp_lt_i32 s72, 0x270f
	s_mov_b32 s74, -1
	s_cselect_b32 s76, -1, 0
	s_cmp_gt_i32 s72, 0x270e
	s_cbranch_scc0 .LBB2_1024
; %bb.1023:                             ;   in Loop: Header=BB2_1021 Depth=3
	s_trap 2
	ds_load_b64 v[98:99], v0
	s_and_not1_b32 s72, s76, exec_lo
	s_mov_b32 s75, 0
	s_wait_storecnt 0x0
	s_wait_loadcnt_dscnt 0x0
	flat_load_b32 v9, v[98:99] scope:SCOPE_SYS
	s_wait_loadcnt_dscnt 0x0
	global_inv scope:SCOPE_SYS
	v_cmp_eq_u32_e64 s13, 0, v9
	s_and_b32 s13, s13, exec_lo
	s_delay_alu instid0(SALU_CYCLE_1)
	s_or_b32 s76, s72, s13
	s_mov_b32 s72, 0
	s_and_saveexec_b32 s77, s76
	s_cbranch_execz .LBB2_1019
	s_branch .LBB2_1018
.LBB2_1024:                             ;   in Loop: Header=BB2_1021 Depth=3
	s_add_co_i32 s72, s72, 1
	s_mov_b32 s75, -1
                                        ; implicit-def: $vgpr9
	s_and_saveexec_b32 s77, s76
	s_cbranch_execz .LBB2_1019
	s_branch .LBB2_1018
.LBB2_1025:                             ;   in Loop: Header=BB2_1013 Depth=2
	s_or_b32 exec_lo, exec_lo, s60
	s_xor_b32 s13, s61, -1
	s_delay_alu instid0(SALU_CYCLE_1) | instskip(NEXT) | instid1(SALU_CYCLE_1)
	s_and_saveexec_b32 s60, s13
	s_xor_b32 s13, exec_lo, s60
	s_cbranch_execz .LBB2_1027
; %bb.1026:                             ;   in Loop: Header=BB2_1013 Depth=2
	v_or_b32_e32 v30, 64, v30
	s_wait_storecnt 0x0
	s_wait_loadcnt_dscnt 0x0
	ds_store_b32 v0, v9
	s_trap 2
.LBB2_1027:                             ;   in Loop: Header=BB2_1013 Depth=2
	s_or_b32 exec_lo, exec_lo, s13
.LBB2_1028:                             ;   in Loop: Header=BB2_1013 Depth=2
	s_delay_alu instid0(SALU_CYCLE_1)
	s_or_b32 exec_lo, exec_lo, s29
	v_and_b32_e32 v9, 0x100, v30
	v_dual_mov_b32 v87, v2 :: v_dual_bitop2_b32 v86, 7, v86 bitop3:0x40
	s_mov_b32 s13, -1
	s_mov_b32 s29, exec_lo
	;;#ASMSTART
	s_wakeup
	;;#ASMEND
                                        ; implicit-def: $vgpr98_vgpr99
	v_cmpx_ne_u32_e32 0, v9
	s_cbranch_execz .LBB2_1032
; %bb.1029:                             ;   in Loop: Header=BB2_1013 Depth=2
	v_mad_nc_u64_u32 v[100:101], v86, 24, v[6:7]
	s_mov_b32 s60, exec_lo
                                        ; implicit-def: $vgpr98_vgpr99
	flat_load_b32 v9, v[100:101]
	s_wait_loadcnt_dscnt 0x0
	v_cmp_ne_u32_e32 vcc_lo, 1, v9
	s_wait_xcnt 0x0
	v_cmpx_eq_u32_e32 1, v9
	s_cbranch_execz .LBB2_1031
; %bb.1030:                             ;   in Loop: Header=BB2_1013 Depth=2
	flat_load_b32 v98, v[100:101] offset:4 scope:SCOPE_SYS
	s_wait_loadcnt_dscnt 0x0
	v_ashrrev_i32_e32 v99, 31, v98
	s_delay_alu instid0(VALU_DEP_1)
	v_lshrrev_b64 v[98:99], 2, v[98:99]
.LBB2_1031:                             ;   in Loop: Header=BB2_1013 Depth=2
	s_wait_xcnt 0x0
	s_or_b32 exec_lo, exec_lo, s60
	s_delay_alu instid0(SALU_CYCLE_1)
	s_or_not1_b32 s13, vcc_lo, exec_lo
.LBB2_1032:                             ;   in Loop: Header=BB2_1013 Depth=2
	s_or_b32 exec_lo, exec_lo, s29
	s_and_saveexec_b32 s29, s13
; %bb.1033:                             ;   in Loop: Header=BB2_1013 Depth=2
	v_mul_u64_e32 v[98:99], v[86:87], v[22:23]
; %bb.1034:                             ;   in Loop: Header=BB2_1013 Depth=2
	s_or_b32 exec_lo, exec_lo, s29
	v_and_b32_e32 v9, 0x2000, v30
	s_delay_alu instid0(VALU_DEP_2)
	v_lshl_add_u64 v[86:87], v[98:99], 2, v[24:25]
	s_mov_b32 s13, exec_lo
	ds_store_b64 v0, v[86:87] offset:720
	v_cmpx_ne_u32_e32 0, v9
	s_cbranch_execz .LBB2_1036
; %bb.1035:                             ;   in Loop: Header=BB2_1013 Depth=2
	ds_load_b64 v[86:87], v0 offset:872
	s_wait_dscnt 0x0
	v_add_nc_u64_e32 v[86:87], 1, v[86:87]
	ds_store_b64 v0, v[86:87] offset:872
.LBB2_1036:                             ;   in Loop: Header=BB2_1013 Depth=2
	s_or_b32 exec_lo, exec_lo, s13
	v_mov_b64_e32 v[86:87], v[96:97]
.LBB2_1037:                             ;   in Loop: Header=BB2_1013 Depth=2
	s_or_b32 exec_lo, exec_lo, s20
	s_and_saveexec_b32 s13, s2
	s_cbranch_execz .LBB2_1056
; %bb.1038:                             ;   in Loop: Header=BB2_1013 Depth=2
	s_and_saveexec_b32 s20, s3
	s_delay_alu instid0(SALU_CYCLE_1)
	s_xor_b32 s20, exec_lo, s20
	s_cbranch_execz .LBB2_1053
; %bb.1039:                             ;   in Loop: Header=BB2_1013 Depth=2
	s_and_saveexec_b32 s29, s6
	s_cbranch_execz .LBB2_1052
; %bb.1040:                             ;   in Loop: Header=BB2_1013 Depth=2
	s_mov_b32 s61, exec_lo
	s_mov_b32 s60, exec_lo
	v_mbcnt_lo_u32_b32 v9, s61, 0
	global_wb scope:SCOPE_DEV
	s_wait_storecnt 0x0
	s_wait_loadcnt_dscnt 0x0
	global_inv scope:SCOPE_DEV
	v_cmpx_eq_u32_e32 0, v9
	s_cbranch_execz .LBB2_1042
; %bb.1041:                             ;   in Loop: Header=BB2_1013 Depth=2
	s_bcnt1_i32_b32 s61, s61
	s_delay_alu instid0(SALU_CYCLE_1)
	v_dual_mov_b32 v97, v2 :: v_dual_mov_b32 v96, s61
	s_wait_loadcnt 0x0
	ds_add_u64 v0, v[96:97]
	s_trap 2
.LBB2_1042:                             ;   in Loop: Header=BB2_1013 Depth=2
	s_or_b32 exec_lo, exec_lo, s60
	s_trap 2
	ds_load_b64 v[96:97], v0
	s_wait_dscnt 0x0
	v_add_nc_u64_e32 v[12:13], v[12:13], v[32:33]
	s_mov_b32 s60, exec_lo
	s_delay_alu instid0(VALU_DEP_1)
	v_cmpx_lt_u64_e64 v[96:97], v[12:13]
	s_cbranch_execz .LBB2_1051
; %bb.1043:                             ;   in Loop: Header=BB2_1013 Depth=2
	s_mov_b32 s61, 0
	s_mov_b32 s72, 0
                                        ; implicit-def: $sgpr62
                                        ; implicit-def: $sgpr63
	s_branch .LBB2_1045
.LBB2_1044:                             ;   in Loop: Header=BB2_1045 Depth=3
	s_or_b32 exec_lo, exec_lo, s74
	s_delay_alu instid0(SALU_CYCLE_1) | instskip(NEXT) | instid1(SALU_CYCLE_1)
	s_and_b32 s73, exec_lo, s75
	s_or_b32 s61, s73, s61
	s_and_not1_b32 s62, s62, exec_lo
	s_and_b32 s73, s63, exec_lo
	s_delay_alu instid0(SALU_CYCLE_1)
	s_or_b32 s62, s62, s73
	s_and_not1_b32 exec_lo, exec_lo, s61
	s_cbranch_execz .LBB2_1049
.LBB2_1045:                             ;   Parent Loop BB2_47 Depth=1
                                        ;     Parent Loop BB2_1013 Depth=2
                                        ; =>    This Inner Loop Header: Depth=3
	s_add_co_i32 s72, s72, 1
	s_delay_alu instid0(SALU_CYCLE_1) | instskip(SKIP_1) | instid1(SALU_CYCLE_1)
	s_cmp_lg_u32 s72, 0x2710
	s_cselect_b32 s73, -1, 0
	s_and_b32 vcc_lo, exec_lo, s73
	s_cbranch_vccz .LBB2_1047
; %bb.1046:                             ;   in Loop: Header=BB2_1045 Depth=3
	s_mov_b32 s75, -1
	s_or_b32 s63, s63, exec_lo
	s_and_saveexec_b32 s74, s73
	s_cbranch_execz .LBB2_1044
	s_branch .LBB2_1048
.LBB2_1047:                             ;   in Loop: Header=BB2_1045 Depth=3
	s_trap 2
	ds_load_b64 v[96:97], v0
	s_and_not1_b32 s73, s73, exec_lo
	s_mov_b32 s72, 0
	s_wait_loadcnt_dscnt 0x0
	flat_load_b32 v9, v[96:97] scope:SCOPE_SYS
	s_wait_loadcnt_dscnt 0x0
	global_inv scope:SCOPE_SYS
	v_cmp_eq_u32_e32 vcc_lo, 0, v9
	s_and_b32 s74, vcc_lo, exec_lo
	s_delay_alu instid0(SALU_CYCLE_1)
	s_or_b32 s73, s73, s74
	s_mov_b32 s75, -1
	s_or_b32 s63, s63, exec_lo
	s_and_saveexec_b32 s74, s73
	s_cbranch_execz .LBB2_1044
.LBB2_1048:                             ;   in Loop: Header=BB2_1045 Depth=3
	s_sleep 1
	s_trap 2
	ds_load_b64 v[96:97], v0
	s_wait_dscnt 0x0
	s_and_not1_b32 s63, s63, exec_lo
	v_cmp_ge_u64_e32 vcc_lo, v[96:97], v[12:13]
	s_or_not1_b32 s75, vcc_lo, exec_lo
	s_branch .LBB2_1044
.LBB2_1049:                             ;   in Loop: Header=BB2_1013 Depth=2
	s_or_b32 exec_lo, exec_lo, s61
	s_and_saveexec_b32 s61, s62
	s_delay_alu instid0(SALU_CYCLE_1)
	s_xor_b32 s61, exec_lo, s61
	s_cbranch_execz .LBB2_1051
; %bb.1050:                             ;   in Loop: Header=BB2_1013 Depth=2
	ds_store_b32 v0, v59
	s_trap 2
.LBB2_1051:                             ;   in Loop: Header=BB2_1013 Depth=2
	s_or_b32 exec_lo, exec_lo, s60
	;;#ASMSTART
	s_wakeup
	;;#ASMEND
.LBB2_1052:                             ;   in Loop: Header=BB2_1013 Depth=2
	s_or_b32 exec_lo, exec_lo, s29
.LBB2_1053:                             ;   in Loop: Header=BB2_1013 Depth=2
	s_and_not1_saveexec_b32 s20, s20
	s_cbranch_execz .LBB2_1055
; %bb.1054:                             ;   in Loop: Header=BB2_1013 Depth=2
	global_wb scope:SCOPE_DEV
	s_wait_storecnt 0x0
	s_wait_loadcnt_dscnt 0x0
	global_inv scope:SCOPE_DEV
	s_barrier_signal -1
	s_barrier_wait -1
.LBB2_1055:                             ;   in Loop: Header=BB2_1013 Depth=2
	s_or_b32 exec_lo, exec_lo, s20
.LBB2_1056:                             ;   in Loop: Header=BB2_1013 Depth=2
	s_delay_alu instid0(SALU_CYCLE_1) | instskip(SKIP_4) | instid1(VALU_DEP_1)
	s_or_b32 exec_lo, exec_lo, s13
	s_trap 2
	ds_load_b32 v9, v0
	v_and_b32_e32 v96, 0x4000, v30
	s_xor_b32 s13, s1, -1
	v_cmp_ne_u32_e32 vcc_lo, 0, v96
	s_and_b32 s20, s13, vcc_lo
	s_delay_alu instid0(SALU_CYCLE_1)
	s_and_saveexec_b32 s13, s20
	s_cbranch_execz .LBB2_1075
; %bb.1057:                             ;   in Loop: Header=BB2_1013 Depth=2
	s_and_saveexec_b32 s20, s3
	s_delay_alu instid0(SALU_CYCLE_1)
	s_xor_b32 s20, exec_lo, s20
	s_cbranch_execz .LBB2_1072
; %bb.1058:                             ;   in Loop: Header=BB2_1013 Depth=2
	s_and_saveexec_b32 s29, s6
	s_cbranch_execz .LBB2_1071
; %bb.1059:                             ;   in Loop: Header=BB2_1013 Depth=2
	s_mov_b32 s61, exec_lo
	s_mov_b32 s60, exec_lo
	v_mbcnt_lo_u32_b32 v96, s61, 0
	global_wb scope:SCOPE_DEV
	s_wait_storecnt 0x0
	s_wait_loadcnt_dscnt 0x0
	global_inv scope:SCOPE_DEV
	v_cmpx_eq_u32_e32 0, v96
	s_cbranch_execz .LBB2_1061
; %bb.1060:                             ;   in Loop: Header=BB2_1013 Depth=2
	s_bcnt1_i32_b32 s61, s61
	s_delay_alu instid0(SALU_CYCLE_1)
	v_dual_mov_b32 v97, v2 :: v_dual_mov_b32 v96, s61
	s_wait_loadcnt 0x0
	ds_add_u64 v0, v[96:97]
	s_trap 2
.LBB2_1061:                             ;   in Loop: Header=BB2_1013 Depth=2
	s_or_b32 exec_lo, exec_lo, s60
	s_trap 2
	ds_load_b64 v[96:97], v0
	s_wait_dscnt 0x0
	v_add_nc_u64_e32 v[12:13], v[12:13], v[32:33]
	s_mov_b32 s60, exec_lo
	s_delay_alu instid0(VALU_DEP_1)
	v_cmpx_lt_u64_e64 v[96:97], v[12:13]
	s_cbranch_execz .LBB2_1070
; %bb.1062:                             ;   in Loop: Header=BB2_1013 Depth=2
	s_mov_b32 s61, 0
	s_mov_b32 s72, 0
                                        ; implicit-def: $sgpr62
                                        ; implicit-def: $sgpr63
	s_branch .LBB2_1064
.LBB2_1063:                             ;   in Loop: Header=BB2_1064 Depth=3
	s_or_b32 exec_lo, exec_lo, s74
	s_delay_alu instid0(SALU_CYCLE_1) | instskip(NEXT) | instid1(SALU_CYCLE_1)
	s_and_b32 s73, exec_lo, s75
	s_or_b32 s61, s73, s61
	s_and_not1_b32 s62, s62, exec_lo
	s_and_b32 s73, s63, exec_lo
	s_delay_alu instid0(SALU_CYCLE_1)
	s_or_b32 s62, s62, s73
	s_and_not1_b32 exec_lo, exec_lo, s61
	s_cbranch_execz .LBB2_1068
.LBB2_1064:                             ;   Parent Loop BB2_47 Depth=1
                                        ;     Parent Loop BB2_1013 Depth=2
                                        ; =>    This Inner Loop Header: Depth=3
	s_add_co_i32 s72, s72, 1
	s_delay_alu instid0(SALU_CYCLE_1) | instskip(SKIP_1) | instid1(SALU_CYCLE_1)
	s_cmp_lg_u32 s72, 0x2710
	s_cselect_b32 s73, -1, 0
	s_and_b32 vcc_lo, exec_lo, s73
	s_cbranch_vccz .LBB2_1066
; %bb.1065:                             ;   in Loop: Header=BB2_1064 Depth=3
	s_mov_b32 s75, -1
	s_or_b32 s63, s63, exec_lo
	s_and_saveexec_b32 s74, s73
	s_cbranch_execz .LBB2_1063
	s_branch .LBB2_1067
.LBB2_1066:                             ;   in Loop: Header=BB2_1064 Depth=3
	s_trap 2
	ds_load_b64 v[96:97], v0
	s_and_not1_b32 s73, s73, exec_lo
	s_mov_b32 s72, 0
	s_wait_loadcnt_dscnt 0x0
	flat_load_b32 v96, v[96:97] scope:SCOPE_SYS
	s_wait_loadcnt_dscnt 0x0
	global_inv scope:SCOPE_SYS
	v_cmp_eq_u32_e32 vcc_lo, 0, v96
	s_and_b32 s74, vcc_lo, exec_lo
	s_delay_alu instid0(SALU_CYCLE_1)
	s_or_b32 s73, s73, s74
	s_mov_b32 s75, -1
	s_or_b32 s63, s63, exec_lo
	s_and_saveexec_b32 s74, s73
	s_cbranch_execz .LBB2_1063
.LBB2_1067:                             ;   in Loop: Header=BB2_1064 Depth=3
	s_sleep 1
	s_trap 2
	ds_load_b64 v[96:97], v0
	s_wait_dscnt 0x0
	s_and_not1_b32 s63, s63, exec_lo
	v_cmp_ge_u64_e32 vcc_lo, v[96:97], v[12:13]
	s_or_not1_b32 s75, vcc_lo, exec_lo
	s_branch .LBB2_1063
.LBB2_1068:                             ;   in Loop: Header=BB2_1013 Depth=2
	s_or_b32 exec_lo, exec_lo, s61
	s_and_saveexec_b32 s61, s62
	s_delay_alu instid0(SALU_CYCLE_1)
	s_xor_b32 s61, exec_lo, s61
	s_cbranch_execz .LBB2_1070
; %bb.1069:                             ;   in Loop: Header=BB2_1013 Depth=2
	ds_store_b32 v0, v59
	s_trap 2
.LBB2_1070:                             ;   in Loop: Header=BB2_1013 Depth=2
	s_or_b32 exec_lo, exec_lo, s60
	;;#ASMSTART
	s_wakeup
	;;#ASMEND
.LBB2_1071:                             ;   in Loop: Header=BB2_1013 Depth=2
	s_or_b32 exec_lo, exec_lo, s29
.LBB2_1072:                             ;   in Loop: Header=BB2_1013 Depth=2
	s_and_not1_saveexec_b32 s20, s20
	s_cbranch_execz .LBB2_1074
; %bb.1073:                             ;   in Loop: Header=BB2_1013 Depth=2
	global_wb scope:SCOPE_DEV
	s_wait_storecnt 0x0
	s_wait_loadcnt_dscnt 0x0
	global_inv scope:SCOPE_DEV
	s_barrier_signal -1
	s_barrier_wait -1
.LBB2_1074:                             ;   in Loop: Header=BB2_1013 Depth=2
	s_or_b32 exec_lo, exec_lo, s20
.LBB2_1075:                             ;   in Loop: Header=BB2_1013 Depth=2
	s_delay_alu instid0(SALU_CYCLE_1) | instskip(SKIP_3) | instid1(VALU_DEP_1)
	s_or_b32 exec_lo, exec_lo, s13
	s_trap 2
	ds_load_b64 v[96:97], v0
	v_sub_nc_u32_e32 v98, v3, v8
	v_min_i32_e32 v102, v102, v98
	s_wait_dscnt 0x0
	v_cmp_eq_u64_e32 vcc_lo, 0, v[96:97]
	s_cbranch_vccnz .LBB2_1083
; %bb.1076:                             ;   in Loop: Header=BB2_1013 Depth=2
	s_trap 2
	ds_load_b64 v[98:99], v0
	s_wait_dscnt 0x0
	v_cmp_eq_u64_e32 vcc_lo, 0, v[98:99]
	s_cbranch_vccnz .LBB2_1083
; %bb.1077:                             ;   in Loop: Header=BB2_1013 Depth=2
	s_mov_b32 s13, -1
	s_and_saveexec_b32 s20, s10
	s_cbranch_execz .LBB2_1079
; %bb.1078:                             ;   in Loop: Header=BB2_1013 Depth=2
	ds_load_b32 v100, v0 offset:720
	s_wait_dscnt 0x0
	v_and_b32_e32 v100, 15, v100
	s_delay_alu instid0(VALU_DEP_1)
	v_cmp_eq_u32_e32 vcc_lo, 0, v100
	s_or_not1_b32 s13, vcc_lo, exec_lo
.LBB2_1079:                             ;   in Loop: Header=BB2_1013 Depth=2
	s_or_b32 exec_lo, exec_lo, s20
	s_and_saveexec_b32 s20, s7
	s_cbranch_execz .LBB2_1081
; %bb.1080:                             ;   in Loop: Header=BB2_1013 Depth=2
	ds_load_b32 v100, v0 offset:784
	s_wait_dscnt 0x0
	v_and_b32_e32 v100, 15, v100
	s_delay_alu instid0(VALU_DEP_1) | instskip(SKIP_3) | instid1(SALU_CYCLE_1)
	v_cmp_eq_u32_e32 vcc_lo, 0, v100
	s_and_b32 s29, s13, vcc_lo
	s_and_not1_b32 s13, s13, exec_lo
	s_and_b32 s29, s29, exec_lo
	s_or_b32 s13, s13, s29
.LBB2_1081:                             ;   in Loop: Header=BB2_1013 Depth=2
	s_or_b32 exec_lo, exec_lo, s20
	v_cmp_eq_u32_e32 vcc_lo, 0, v9
	s_xor_b32 s13, s13, -1
	s_mov_b32 s29, -1
	v_cndmask_b32_e64 v100, 0, 1, s13
	v_dual_mov_b32 v112, 0 :: v_dual_cndmask_b32 v9, 0, v102
	s_delay_alu instid0(VALU_DEP_2) | instskip(NEXT) | instid1(VALU_DEP_2)
	v_cmp_ne_u32_e32 vcc_lo, 0, v100
	v_lshlrev_b32_e32 v103, 2, v9
	s_cbranch_vccz .LBB2_1088
; %bb.1082:                             ;   in Loop: Header=BB2_1013 Depth=2
	v_mov_b32_e32 v113, v0
	s_and_saveexec_b32 s13, s29
	s_cbranch_execnz .LBB2_1099
	s_branch .LBB2_1107
.LBB2_1083:                             ;   in Loop: Header=BB2_1013 Depth=2
	s_mov_b32 s13, 0
	s_and_saveexec_b32 s20, s2
	s_cbranch_execnz .LBB2_1108
.LBB2_1084:                             ;   in Loop: Header=BB2_1013 Depth=2
	s_or_b32 exec_lo, exec_lo, s20
	s_and_saveexec_b32 s20, s12
	s_delay_alu instid0(SALU_CYCLE_1)
	s_xor_b32 s20, exec_lo, s20
	s_cbranch_execz .LBB2_1126
.LBB2_1085:                             ;   in Loop: Header=BB2_1013 Depth=2
	v_and_b32_e32 v9, 16, v30
	s_delay_alu instid0(VALU_DEP_1) | instskip(SKIP_1) | instid1(SALU_CYCLE_1)
	v_cmp_ne_u32_e32 vcc_lo, 0, v9
	s_and_b32 s29, vcc_lo, s13
	s_and_saveexec_b32 s13, s29
	s_cbranch_execz .LBB2_1087
; %bb.1086:                             ;   in Loop: Header=BB2_1013 Depth=2
	global_wb scope:SCOPE_SYS
	s_wait_storecnt 0x0
	s_wait_loadcnt_dscnt 0x0
	global_inv scope:SCOPE_SYS
.LBB2_1087:                             ;   in Loop: Header=BB2_1013 Depth=2
	s_or_b32 exec_lo, exec_lo, s13
	s_and_not1_saveexec_b32 s13, s20
	s_cbranch_execz .LBB2_1145
	s_branch .LBB2_1127
.LBB2_1088:                             ;   in Loop: Header=BB2_1013 Depth=2
	s_delay_alu instid0(VALU_DEP_1) | instskip(SKIP_1) | instid1(VALU_DEP_1)
	v_ashrrev_i32_e32 v100, 31, v103
	s_mov_b32 s13, exec_lo
	v_lshrrev_b32_e32 v100, 22, v100
	s_delay_alu instid0(VALU_DEP_1) | instskip(NEXT) | instid1(VALU_DEP_1)
	v_add_nc_u32_e32 v100, v103, v100
	v_ashrrev_i32_e32 v112, 10, v100
	s_delay_alu instid0(VALU_DEP_1) | instskip(NEXT) | instid1(VALU_DEP_1)
	v_sub_nc_u32_e32 v115, v112, v58
	v_cmpx_lt_i32_e32 0, v115
	s_cbranch_execz .LBB2_1092
; %bb.1089:                             ;   in Loop: Header=BB2_1013 Depth=2
	v_mov_b64_e32 v[100:101], v[66:67]
	s_mov_b32 s20, 0
.LBB2_1090:                             ;   Parent Loop BB2_47 Depth=1
                                        ;     Parent Loop BB2_1013 Depth=2
                                        ; =>    This Inner Loop Header: Depth=3
	s_delay_alu instid0(VALU_DEP_1)
	v_add_nc_u64_e32 v[40:41], v[96:97], v[100:101]
	v_sub_nc_u32_e32 v115, v115, v32
	v_add_nc_u64_e32 v[44:45], v[98:99], v[100:101]
	v_add_nc_u64_e32 v[100:101], v[100:101], v[48:49]
	s_clause 0x1
	global_load_b128 v[116:119], v[40:41], off th:TH_LOAD_NT
	global_load_b128 v[40:43], v[40:41], off offset:512 th:TH_LOAD_NT
	v_cmp_gt_i32_e32 vcc_lo, 1, v115
	s_wait_loadcnt 0x1
	global_store_b128 v[44:45], v[116:119], off th:TH_STORE_NT
	s_wait_loadcnt 0x0
	global_store_b128 v[44:45], v[40:43], off offset:512 th:TH_STORE_NT
	s_or_b32 s20, vcc_lo, s20
	s_wait_xcnt 0x0
	s_and_not1_b32 exec_lo, exec_lo, s20
	s_cbranch_execnz .LBB2_1090
; %bb.1091:                             ;   in Loop: Header=BB2_1013 Depth=2
	s_or_b32 exec_lo, exec_lo, s20
.LBB2_1092:                             ;   in Loop: Header=BB2_1013 Depth=2
	s_delay_alu instid0(SALU_CYCLE_1) | instskip(SKIP_3) | instid1(VALU_DEP_1)
	s_or_b32 exec_lo, exec_lo, s13
	v_dual_lshlrev_b32 v114, 10, v112 :: v_dual_mov_b32 v112, 0
	s_mov_b32 s29, 0
	s_mov_b32 s20, exec_lo
                                        ; implicit-def: $vgpr113
	v_cmpx_ne_u32_e64 v103, v114
	s_cbranch_execz .LBB2_1098
; %bb.1093:                             ;   in Loop: Header=BB2_1013 Depth=2
	v_dual_lshlrev_b32 v100, 5, v115 :: v_dual_sub_nc_u32 v116, v103, v114
	s_mov_b32 s29, exec_lo
	s_delay_alu instid0(VALU_DEP_1) | instskip(NEXT) | instid1(VALU_DEP_1)
	v_sub_nc_u32_e32 v100, v57, v100
	v_ashrrev_i32_e32 v101, 31, v100
	s_delay_alu instid0(VALU_DEP_1) | instskip(NEXT) | instid1(VALU_DEP_1)
	v_dual_lshrrev_b32 v101, 27, v101 :: v_dual_ashrrev_i32 v112, 31, v116
	v_dual_add_nc_u32 v101, v100, v101 :: v_dual_lshrrev_b32 v112, 23, v112
	s_delay_alu instid0(VALU_DEP_1) | instskip(SKIP_1) | instid1(VALU_DEP_2)
	v_and_b32_e32 v113, 0xffffffe0, v101
	v_ashrrev_i32_e32 v101, 5, v101
	v_sub_nc_u32_e32 v113, v100, v113
	s_delay_alu instid0(VALU_DEP_1) | instskip(NEXT) | instid1(VALU_DEP_1)
	v_dual_add_nc_u32 v117, v116, v112 :: v_dual_lshlrev_b32 v100, 4, v113
	v_and_b32_e32 v112, 0xfffffe00, v117
	v_ashrrev_i32_e32 v117, 9, v117
	s_delay_alu instid0(VALU_DEP_3) | instskip(NEXT) | instid1(VALU_DEP_3)
	v_lshl_add_u32 v100, v101, 9, v100
	v_sub_nc_u32_e32 v115, v116, v112
	s_delay_alu instid0(VALU_DEP_1) | instskip(NEXT) | instid1(VALU_DEP_4)
	v_cmp_lt_i32_e32 vcc_lo, 15, v115
	v_add_co_ci_u32_e64 v118, null, 0, v117, vcc_lo
	s_delay_alu instid0(VALU_DEP_1) | instskip(NEXT) | instid1(VALU_DEP_1)
	v_dual_sub_nc_u32 v117, v116, v100 :: v_dual_sub_nc_u32 v116, v118, v101
	v_cmpx_lt_i32_e32 15, v117
	s_cbranch_execz .LBB2_1097
; %bb.1094:                             ;   in Loop: Header=BB2_1013 Depth=2
	v_add_nc_u32_e32 v100, v100, v114
	s_mov_b32 s60, 0
	s_delay_alu instid0(VALU_DEP_1)
	v_ashrrev_i32_e32 v101, 31, v100
.LBB2_1095:                             ;   Parent Loop BB2_47 Depth=1
                                        ;     Parent Loop BB2_1013 Depth=2
                                        ; =>    This Inner Loop Header: Depth=3
	s_delay_alu instid0(VALU_DEP_1) | instskip(SKIP_1) | instid1(VALU_DEP_1)
	v_add_nc_u64_e32 v[118:119], v[96:97], v[100:101]
	v_dual_sub_nc_u32 v117, v117, v50 :: v_dual_sub_nc_u32 v116, v116, v32
	v_cmp_gt_i32_e64 s13, 16, v117
	global_load_b128 v[40:43], v[118:119], off th:TH_LOAD_NT
	s_wait_xcnt 0x0
	v_add_nc_u64_e32 v[118:119], v[98:99], v[100:101]
	v_add_nc_u64_e32 v[100:101], v[100:101], v[50:51]
	s_or_b32 s60, s13, s60
	s_wait_loadcnt 0x0
	global_store_b128 v[118:119], v[40:43], off th:TH_STORE_NT
	s_wait_xcnt 0x0
	s_and_not1_b32 exec_lo, exec_lo, s60
	s_cbranch_execnz .LBB2_1095
; %bb.1096:                             ;   in Loop: Header=BB2_1013 Depth=2
	s_or_b32 exec_lo, exec_lo, s60
.LBB2_1097:                             ;   in Loop: Header=BB2_1013 Depth=2
	s_delay_alu instid0(SALU_CYCLE_1) | instskip(NEXT) | instid1(VALU_DEP_2)
	s_or_b32 exec_lo, exec_lo, s29
	v_cmp_lt_i32_e64 s13, 0, v116
	s_delay_alu instid0(VALU_DEP_1) | instskip(NEXT) | instid1(VALU_DEP_1)
	v_dual_cndmask_b32 v117, 0, v32, s13 :: v_dual_bitop2_b32 v100, 12, v103 bitop3:0x40
	v_dual_sub_nc_u32 v101, v115, v100 :: v_dual_cndmask_b32 v103, v115, v100, vcc_lo
	s_delay_alu instid0(VALU_DEP_1) | instskip(NEXT) | instid1(VALU_DEP_2)
	v_dual_cndmask_b32 v100, 0, v101 :: v_dual_sub_nc_u32 v101, v117, v116
	v_cmp_ne_u32_e32 vcc_lo, 0, v103
	s_delay_alu instid0(VALU_DEP_2) | instskip(NEXT) | instid1(VALU_DEP_3)
	v_add3_u32 v112, v112, v114, v100
	v_lshl_add_u32 v113, v101, 5, v113
	s_and_b32 s29, vcc_lo, exec_lo
.LBB2_1098:                             ;   in Loop: Header=BB2_1013 Depth=2
	s_or_b32 exec_lo, exec_lo, s20
	s_and_saveexec_b32 s13, s29
	s_cbranch_execz .LBB2_1107
.LBB2_1099:                             ;   in Loop: Header=BB2_1013 Depth=2
	s_delay_alu instid0(VALU_DEP_1) | instskip(SKIP_1) | instid1(VALU_DEP_1)
	v_dual_ashrrev_i32 v100, 31, v113 :: v_dual_ashrrev_i32 v101, 31, v103
	s_mov_b32 s20, exec_lo
	v_dual_lshrrev_b32 v100, 27, v100 :: v_dual_lshrrev_b32 v101, 24, v101
	s_delay_alu instid0(VALU_DEP_1) | instskip(NEXT) | instid1(VALU_DEP_1)
	v_dual_add_nc_u32 v100, v113, v100 :: v_dual_add_nc_u32 v101, v103, v101
	v_dual_ashrrev_i32 v114, 5, v100 :: v_dual_ashrrev_i32 v116, 8, v101
	s_delay_alu instid0(VALU_DEP_1) | instskip(NEXT) | instid1(VALU_DEP_1)
	v_sub_nc_u32_e32 v115, v116, v114
	v_cmpx_lt_i32_e32 0, v115
	s_cbranch_execz .LBB2_1103
; %bb.1100:                             ;   in Loop: Header=BB2_1013 Depth=2
	v_and_b32_e32 v100, 0x3fffffe0, v100
	s_mov_b32 s29, 0
	s_delay_alu instid0(VALU_DEP_1) | instskip(NEXT) | instid1(VALU_DEP_1)
	v_dual_lshlrev_b32 v101, 8, v114 :: v_dual_sub_nc_u32 v100, v113, v100
	v_lshlrev_b32_e32 v100, 2, v100
	s_delay_alu instid0(VALU_DEP_1) | instskip(NEXT) | instid1(VALU_DEP_1)
	v_add3_u32 v100, v100, v112, v101
	v_ashrrev_i32_e32 v101, 31, v100
.LBB2_1101:                             ;   Parent Loop BB2_47 Depth=1
                                        ;     Parent Loop BB2_1013 Depth=2
                                        ; =>    This Inner Loop Header: Depth=3
	s_delay_alu instid0(VALU_DEP_1)
	v_add_nc_u64_e32 v[118:119], v[96:97], v[100:101]
	v_sub_nc_u32_e32 v115, v115, v32
	s_clause 0x1
	flat_load_b32 v117, v[118:119] th:TH_LOAD_NT
	flat_load_b32 v40, v[118:119] offset:128 th:TH_LOAD_NT
	s_wait_xcnt 0x0
	v_add_nc_u64_e32 v[118:119], v[98:99], v[100:101]
	v_cmp_gt_i32_e32 vcc_lo, 1, v115
	v_add_nc_u64_e32 v[100:101], v[100:101], v[52:53]
	s_wait_loadcnt_dscnt 0x101
	flat_store_b32 v[118:119], v117 th:TH_STORE_NT
	s_wait_loadcnt_dscnt 0x1
	flat_store_b32 v[118:119], v40 offset:128 th:TH_STORE_NT
	s_or_b32 s29, vcc_lo, s29
	s_wait_xcnt 0x0
	s_and_not1_b32 exec_lo, exec_lo, s29
	s_cbranch_execnz .LBB2_1101
; %bb.1102:                             ;   in Loop: Header=BB2_1013 Depth=2
	s_or_b32 exec_lo, exec_lo, s29
.LBB2_1103:                             ;   in Loop: Header=BB2_1013 Depth=2
	s_delay_alu instid0(SALU_CYCLE_1) | instskip(SKIP_1) | instid1(VALU_DEP_1)
	s_or_b32 exec_lo, exec_lo, s20
	v_lshlrev_b32_e32 v100, 8, v116
	v_cmp_ne_u32_e32 vcc_lo, v103, v100
	s_and_b32 exec_lo, exec_lo, vcc_lo
	s_cbranch_execz .LBB2_1107
; %bb.1104:                             ;   in Loop: Header=BB2_1013 Depth=2
	v_lshlrev_b32_e32 v101, 5, v114
	s_delay_alu instid0(VALU_DEP_1) | instskip(NEXT) | instid1(VALU_DEP_1)
	v_dual_sub_nc_u32 v101, v113, v101 :: v_dual_lshlrev_b32 v113, 5, v115
	v_sub_nc_u32_e32 v101, v101, v113
	s_delay_alu instid0(VALU_DEP_1) | instskip(NEXT) | instid1(VALU_DEP_1)
	v_ashrrev_i32_e32 v113, 31, v101
	v_lshrrev_b32_e32 v113, 27, v113
	s_delay_alu instid0(VALU_DEP_1) | instskip(NEXT) | instid1(VALU_DEP_1)
	v_add_nc_u32_e32 v113, v101, v113
	v_and_b32_e32 v114, 0x3fffffe0, v113
	s_delay_alu instid0(VALU_DEP_1) | instskip(NEXT) | instid1(VALU_DEP_1)
	v_dual_lshlrev_b32 v113, 2, v113 :: v_dual_sub_nc_u32 v101, v101, v114
	v_and_b32_e32 v113, 0xffffff80, v113
	s_delay_alu instid0(VALU_DEP_2) | instskip(NEXT) | instid1(VALU_DEP_1)
	v_lshlrev_b32_e32 v101, 2, v101
	v_add3_u32 v100, v113, v101, v100
	s_delay_alu instid0(VALU_DEP_1) | instskip(NEXT) | instid1(VALU_DEP_1)
	v_sub_nc_u32_e32 v103, v103, v100
	v_cmp_lt_i32_e32 vcc_lo, 3, v103
	s_and_b32 exec_lo, exec_lo, vcc_lo
	s_cbranch_execz .LBB2_1107
; %bb.1105:                             ;   in Loop: Header=BB2_1013 Depth=2
	v_add_nc_u32_e32 v100, v100, v112
	s_mov_b32 s20, 0
	s_delay_alu instid0(VALU_DEP_1)
	v_ashrrev_i32_e32 v101, 31, v100
.LBB2_1106:                             ;   Parent Loop BB2_47 Depth=1
                                        ;     Parent Loop BB2_1013 Depth=2
                                        ; =>    This Inner Loop Header: Depth=3
	s_delay_alu instid0(VALU_DEP_1) | instskip(SKIP_1) | instid1(VALU_DEP_1)
	v_add_nc_u64_e32 v[112:113], v[96:97], v[100:101]
	v_sub_nc_u32_e32 v103, v103, v54
	v_cmp_gt_i32_e32 vcc_lo, 4, v103
	flat_load_b32 v114, v[112:113] th:TH_LOAD_NT
	s_wait_xcnt 0x0
	v_add_nc_u64_e32 v[112:113], v[98:99], v[100:101]
	v_add_nc_u64_e32 v[100:101], v[100:101], v[54:55]
	s_or_b32 s20, vcc_lo, s20
	s_wait_loadcnt_dscnt 0x0
	flat_store_b32 v[112:113], v114 th:TH_STORE_NT
	s_wait_xcnt 0x0
	s_and_not1_b32 exec_lo, exec_lo, s20
	s_cbranch_execnz .LBB2_1106
.LBB2_1107:                             ;   in Loop: Header=BB2_1013 Depth=2
	s_or_b32 exec_lo, exec_lo, s13
	v_cmp_lt_i32_e64 s13, 0, v9
	s_and_saveexec_b32 s20, s2
	s_cbranch_execz .LBB2_1084
.LBB2_1108:                             ;   in Loop: Header=BB2_1013 Depth=2
	s_and_saveexec_b32 s29, s3
	s_delay_alu instid0(SALU_CYCLE_1)
	s_xor_b32 s29, exec_lo, s29
	s_cbranch_execz .LBB2_1123
; %bb.1109:                             ;   in Loop: Header=BB2_1013 Depth=2
	s_and_saveexec_b32 s60, s6
	s_cbranch_execz .LBB2_1122
; %bb.1110:                             ;   in Loop: Header=BB2_1013 Depth=2
	s_mov_b32 s62, exec_lo
	s_mov_b32 s61, exec_lo
	v_mbcnt_lo_u32_b32 v9, s62, 0
	global_wb scope:SCOPE_DEV
	s_wait_storecnt 0x0
	s_wait_loadcnt_dscnt 0x0
	global_inv scope:SCOPE_DEV
	v_cmpx_eq_u32_e32 0, v9
	s_cbranch_execz .LBB2_1112
; %bb.1111:                             ;   in Loop: Header=BB2_1013 Depth=2
	s_bcnt1_i32_b32 s62, s62
	s_delay_alu instid0(SALU_CYCLE_1)
	v_dual_mov_b32 v97, v2 :: v_dual_mov_b32 v96, s62
	s_wait_loadcnt 0x0
	ds_add_u64 v0, v[96:97]
	s_trap 2
.LBB2_1112:                             ;   in Loop: Header=BB2_1013 Depth=2
	s_or_b32 exec_lo, exec_lo, s61
	s_trap 2
	ds_load_b64 v[96:97], v0
	s_wait_dscnt 0x0
	v_add_nc_u64_e32 v[12:13], v[12:13], v[32:33]
	s_mov_b32 s61, exec_lo
	s_delay_alu instid0(VALU_DEP_1)
	v_cmpx_lt_u64_e64 v[96:97], v[12:13]
	s_cbranch_execz .LBB2_1121
; %bb.1113:                             ;   in Loop: Header=BB2_1013 Depth=2
	s_mov_b32 s62, 0
	s_mov_b32 s73, 0
                                        ; implicit-def: $sgpr63
                                        ; implicit-def: $sgpr72
	s_branch .LBB2_1115
.LBB2_1114:                             ;   in Loop: Header=BB2_1115 Depth=3
	s_or_b32 exec_lo, exec_lo, s75
	s_delay_alu instid0(SALU_CYCLE_1) | instskip(NEXT) | instid1(SALU_CYCLE_1)
	s_and_b32 s74, exec_lo, s76
	s_or_b32 s62, s74, s62
	s_and_not1_b32 s63, s63, exec_lo
	s_and_b32 s74, s72, exec_lo
	s_delay_alu instid0(SALU_CYCLE_1)
	s_or_b32 s63, s63, s74
	s_and_not1_b32 exec_lo, exec_lo, s62
	s_cbranch_execz .LBB2_1119
.LBB2_1115:                             ;   Parent Loop BB2_47 Depth=1
                                        ;     Parent Loop BB2_1013 Depth=2
                                        ; =>    This Inner Loop Header: Depth=3
	s_add_co_i32 s73, s73, 1
	s_delay_alu instid0(SALU_CYCLE_1) | instskip(SKIP_1) | instid1(SALU_CYCLE_1)
	s_cmp_lg_u32 s73, 0x2710
	s_cselect_b32 s74, -1, 0
	s_and_b32 vcc_lo, exec_lo, s74
	s_cbranch_vccz .LBB2_1117
; %bb.1116:                             ;   in Loop: Header=BB2_1115 Depth=3
	s_mov_b32 s76, -1
	s_or_b32 s72, s72, exec_lo
	s_and_saveexec_b32 s75, s74
	s_cbranch_execz .LBB2_1114
	s_branch .LBB2_1118
.LBB2_1117:                             ;   in Loop: Header=BB2_1115 Depth=3
	s_trap 2
	ds_load_b64 v[96:97], v0
	s_and_not1_b32 s74, s74, exec_lo
	s_mov_b32 s73, 0
	s_wait_loadcnt_dscnt 0x0
	flat_load_b32 v9, v[96:97] scope:SCOPE_SYS
	s_wait_loadcnt_dscnt 0x0
	global_inv scope:SCOPE_SYS
	v_cmp_eq_u32_e32 vcc_lo, 0, v9
	s_and_b32 s75, vcc_lo, exec_lo
	s_delay_alu instid0(SALU_CYCLE_1)
	s_or_b32 s74, s74, s75
	s_mov_b32 s76, -1
	s_or_b32 s72, s72, exec_lo
	s_and_saveexec_b32 s75, s74
	s_cbranch_execz .LBB2_1114
.LBB2_1118:                             ;   in Loop: Header=BB2_1115 Depth=3
	s_sleep 1
	s_trap 2
	ds_load_b64 v[96:97], v0
	s_wait_dscnt 0x0
	s_and_not1_b32 s72, s72, exec_lo
	v_cmp_ge_u64_e32 vcc_lo, v[96:97], v[12:13]
	s_or_not1_b32 s76, vcc_lo, exec_lo
	s_branch .LBB2_1114
.LBB2_1119:                             ;   in Loop: Header=BB2_1013 Depth=2
	s_or_b32 exec_lo, exec_lo, s62
	s_and_saveexec_b32 s62, s63
	s_delay_alu instid0(SALU_CYCLE_1)
	s_xor_b32 s62, exec_lo, s62
	s_cbranch_execz .LBB2_1121
; %bb.1120:                             ;   in Loop: Header=BB2_1013 Depth=2
	ds_store_b32 v0, v59
	s_trap 2
.LBB2_1121:                             ;   in Loop: Header=BB2_1013 Depth=2
	s_or_b32 exec_lo, exec_lo, s61
	;;#ASMSTART
	s_wakeup
	;;#ASMEND
.LBB2_1122:                             ;   in Loop: Header=BB2_1013 Depth=2
	s_or_b32 exec_lo, exec_lo, s60
.LBB2_1123:                             ;   in Loop: Header=BB2_1013 Depth=2
	s_and_not1_saveexec_b32 s29, s29
	s_cbranch_execz .LBB2_1125
; %bb.1124:                             ;   in Loop: Header=BB2_1013 Depth=2
	global_wb scope:SCOPE_DEV
	s_wait_storecnt 0x0
	s_wait_loadcnt_dscnt 0x0
	global_inv scope:SCOPE_DEV
	s_barrier_signal -1
	s_barrier_wait -1
.LBB2_1125:                             ;   in Loop: Header=BB2_1013 Depth=2
	s_or_b32 exec_lo, exec_lo, s29
	s_delay_alu instid0(SALU_CYCLE_1) | instskip(SKIP_1) | instid1(SALU_CYCLE_1)
	s_or_b32 exec_lo, exec_lo, s20
	s_and_saveexec_b32 s20, s12
	s_xor_b32 s20, exec_lo, s20
	s_cbranch_execnz .LBB2_1085
.LBB2_1126:                             ;   in Loop: Header=BB2_1013 Depth=2
	s_and_not1_saveexec_b32 s13, s20
	s_cbranch_execz .LBB2_1145
.LBB2_1127:                             ;   in Loop: Header=BB2_1013 Depth=2
	s_and_saveexec_b32 s20, s3
	s_delay_alu instid0(SALU_CYCLE_1)
	s_xor_b32 s20, exec_lo, s20
	s_cbranch_execz .LBB2_1142
; %bb.1128:                             ;   in Loop: Header=BB2_1013 Depth=2
	s_and_saveexec_b32 s29, s6
	s_cbranch_execz .LBB2_1141
; %bb.1129:                             ;   in Loop: Header=BB2_1013 Depth=2
	s_mov_b32 s61, exec_lo
	s_mov_b32 s60, exec_lo
	v_mbcnt_lo_u32_b32 v9, s61, 0
	;;#ASMSTART
	s_waitcnt lgkmcnt(0) vmcnt(0)
	;;#ASMEND
	s_delay_alu instid0(VALU_DEP_1)
	v_cmpx_eq_u32_e32 0, v9
	s_cbranch_execz .LBB2_1131
; %bb.1130:                             ;   in Loop: Header=BB2_1013 Depth=2
	s_bcnt1_i32_b32 s61, s61
	s_delay_alu instid0(SALU_CYCLE_1)
	v_dual_mov_b32 v97, v2 :: v_dual_mov_b32 v96, s61
	s_wait_storecnt 0x0
	s_wait_loadcnt_dscnt 0x0
	ds_add_u64 v0, v[96:97]
	s_trap 2
.LBB2_1131:                             ;   in Loop: Header=BB2_1013 Depth=2
	s_or_b32 exec_lo, exec_lo, s60
	s_trap 2
	ds_load_b64 v[96:97], v0
	s_wait_dscnt 0x0
	v_add_nc_u64_e32 v[12:13], v[12:13], v[32:33]
	s_mov_b32 s60, exec_lo
	s_delay_alu instid0(VALU_DEP_1)
	v_cmpx_lt_u64_e64 v[96:97], v[12:13]
	s_cbranch_execz .LBB2_1140
; %bb.1132:                             ;   in Loop: Header=BB2_1013 Depth=2
	s_mov_b32 s61, 0
	s_mov_b32 s72, 0
                                        ; implicit-def: $sgpr62
                                        ; implicit-def: $sgpr63
	s_branch .LBB2_1134
.LBB2_1133:                             ;   in Loop: Header=BB2_1134 Depth=3
	s_or_b32 exec_lo, exec_lo, s74
	s_delay_alu instid0(SALU_CYCLE_1) | instskip(NEXT) | instid1(SALU_CYCLE_1)
	s_and_b32 s73, exec_lo, s75
	s_or_b32 s61, s73, s61
	s_and_not1_b32 s62, s62, exec_lo
	s_and_b32 s73, s63, exec_lo
	s_delay_alu instid0(SALU_CYCLE_1)
	s_or_b32 s62, s62, s73
	s_and_not1_b32 exec_lo, exec_lo, s61
	s_cbranch_execz .LBB2_1138
.LBB2_1134:                             ;   Parent Loop BB2_47 Depth=1
                                        ;     Parent Loop BB2_1013 Depth=2
                                        ; =>    This Inner Loop Header: Depth=3
	s_add_co_i32 s72, s72, 1
	s_delay_alu instid0(SALU_CYCLE_1) | instskip(SKIP_1) | instid1(SALU_CYCLE_1)
	s_cmp_lg_u32 s72, 0x2710
	s_cselect_b32 s73, -1, 0
	s_and_b32 vcc_lo, exec_lo, s73
	s_cbranch_vccz .LBB2_1136
; %bb.1135:                             ;   in Loop: Header=BB2_1134 Depth=3
	s_mov_b32 s75, -1
	s_or_b32 s63, s63, exec_lo
	s_and_saveexec_b32 s74, s73
	s_cbranch_execz .LBB2_1133
	s_branch .LBB2_1137
.LBB2_1136:                             ;   in Loop: Header=BB2_1134 Depth=3
	s_trap 2
	ds_load_b64 v[96:97], v0
	s_and_not1_b32 s73, s73, exec_lo
	s_mov_b32 s72, 0
	s_wait_storecnt 0x0
	s_wait_loadcnt_dscnt 0x0
	flat_load_b32 v9, v[96:97] scope:SCOPE_SYS
	s_wait_loadcnt_dscnt 0x0
	global_inv scope:SCOPE_SYS
	v_cmp_eq_u32_e32 vcc_lo, 0, v9
	s_and_b32 s74, vcc_lo, exec_lo
	s_delay_alu instid0(SALU_CYCLE_1)
	s_or_b32 s73, s73, s74
	s_mov_b32 s75, -1
	s_or_b32 s63, s63, exec_lo
	s_and_saveexec_b32 s74, s73
	s_cbranch_execz .LBB2_1133
.LBB2_1137:                             ;   in Loop: Header=BB2_1134 Depth=3
	s_sleep 1
	s_trap 2
	ds_load_b64 v[96:97], v0
	s_wait_dscnt 0x0
	s_and_not1_b32 s63, s63, exec_lo
	v_cmp_ge_u64_e32 vcc_lo, v[96:97], v[12:13]
	s_or_not1_b32 s75, vcc_lo, exec_lo
	s_branch .LBB2_1133
.LBB2_1138:                             ;   in Loop: Header=BB2_1013 Depth=2
	s_or_b32 exec_lo, exec_lo, s61
	s_and_saveexec_b32 s61, s62
	s_delay_alu instid0(SALU_CYCLE_1)
	s_xor_b32 s61, exec_lo, s61
	s_cbranch_execz .LBB2_1140
; %bb.1139:                             ;   in Loop: Header=BB2_1013 Depth=2
	ds_store_b32 v0, v59
	s_trap 2
.LBB2_1140:                             ;   in Loop: Header=BB2_1013 Depth=2
	s_or_b32 exec_lo, exec_lo, s60
	;;#ASMSTART
	s_wakeup
	;;#ASMEND
.LBB2_1141:                             ;   in Loop: Header=BB2_1013 Depth=2
	s_or_b32 exec_lo, exec_lo, s29
.LBB2_1142:                             ;   in Loop: Header=BB2_1013 Depth=2
	s_and_not1_saveexec_b32 s20, s20
	s_cbranch_execz .LBB2_1144
; %bb.1143:                             ;   in Loop: Header=BB2_1013 Depth=2
	;;#ASMSTART
	s_waitcnt lgkmcnt(0) vmcnt(0)
	;;#ASMEND
	s_barrier_signal -1
	s_barrier_wait -1
.LBB2_1144:                             ;   in Loop: Header=BB2_1013 Depth=2
	s_or_b32 exec_lo, exec_lo, s20
.LBB2_1145:                             ;   in Loop: Header=BB2_1013 Depth=2
	s_delay_alu instid0(SALU_CYCLE_1) | instskip(SKIP_2) | instid1(VALU_DEP_1)
	s_or_b32 exec_lo, exec_lo, s13
	v_and_b32_e32 v9, 32, v30
	s_mov_b32 s13, exec_lo
	v_cmpx_ne_u32_e32 0, v9
	s_cbranch_execz .LBB2_1012
; %bb.1146:                             ;   in Loop: Header=BB2_1013 Depth=2
	v_add_nc_u64_e32 v[86:87], 2, v[86:87]
	global_wb scope:SCOPE_SYS
	s_wait_storecnt 0x0
	s_wait_loadcnt_dscnt 0x0
	flat_store_b64 v[20:21], v[86:87] scope:SCOPE_SYS
	s_branch .LBB2_1012
.LBB2_1147:                             ;   in Loop: Header=BB2_47 Depth=1
	s_or_b32 exec_lo, exec_lo, s15
.LBB2_1148:                             ;   in Loop: Header=BB2_47 Depth=1
	s_delay_alu instid0(SALU_CYCLE_1) | instskip(NEXT) | instid1(SALU_CYCLE_1)
	s_or_b32 exec_lo, exec_lo, s14
	s_mov_b32 s14, exec_lo
	v_cmpx_gt_i32_e32 2, v9
	s_cbranch_execz .LBB2_46
; %bb.1149:                             ;   in Loop: Header=BB2_47 Depth=1
	v_cmp_eq_u32_e64 s16, 0, v9
	s_mov_b32 s15, 0
	s_branch .LBB2_1151
.LBB2_1150:                             ;   in Loop: Header=BB2_1151 Depth=2
	s_wait_xcnt 0x0
	s_or_b32 exec_lo, exec_lo, s13
	v_add_nc_u32_e32 v8, v102, v8
	s_mov_b32 s16, 0
	s_and_not1_b32 exec_lo, exec_lo, s15
	s_cbranch_execz .LBB2_45
.LBB2_1151:                             ;   Parent Loop BB2_47 Depth=1
                                        ; =>  This Loop Header: Depth=2
                                        ;       Child Loop BB2_1157 Depth 3
                                        ;       Child Loop BB2_1181 Depth 3
	;; [unrolled: 1-line block ×3, first 2 shown]
	v_and_b32_e32 v9, 4, v30
	s_mov_b32 s17, exec_lo
	s_delay_alu instid0(VALU_DEP_1)
	v_cmpx_ne_u32_e32 0, v9
	s_cbranch_execz .LBB2_1173
; %bb.1152:                             ;   in Loop: Header=BB2_1151 Depth=2
	v_add_nc_u64_e32 v[10:11], 2, v[86:87]
	s_mov_b32 s20, exec_lo
	s_wait_loadcnt_dscnt 0x1
	s_delay_alu instid0(VALU_DEP_1)
	v_cmpx_lt_u64_e64 v[28:29], v[10:11]
	s_cbranch_execz .LBB2_1164
; %bb.1153:                             ;   in Loop: Header=BB2_1151 Depth=2
	v_and_b32_e32 v9, 64, v30
	s_mov_b32 s29, 0
	s_mov_b32 s63, 0
                                        ; implicit-def: $sgpr60
                                        ; implicit-def: $sgpr61
                                        ; implicit-def: $sgpr62
	s_delay_alu instid0(VALU_DEP_1)
	v_cmp_eq_u32_e32 vcc_lo, 0, v9
	s_branch .LBB2_1157
.LBB2_1154:                             ;   in Loop: Header=BB2_1157 Depth=3
	s_wait_loadcnt_dscnt 0x0
	v_cmp_ge_u64_e64 s13, v[28:29], v[10:11]
	s_or_b32 s74, s74, exec_lo
	s_or_not1_b32 s73, s13, exec_lo
.LBB2_1155:                             ;   in Loop: Header=BB2_1157 Depth=3
	s_or_b32 exec_lo, exec_lo, s76
	s_delay_alu instid0(SALU_CYCLE_1)
	s_and_not1_b32 s13, s62, exec_lo
	s_and_b32 s62, s74, exec_lo
	s_and_not1_b32 s61, s61, exec_lo
	s_and_b32 s73, s73, exec_lo
	s_or_b32 s62, s13, s62
	s_or_b32 s61, s61, s73
.LBB2_1156:                             ;   in Loop: Header=BB2_1157 Depth=3
	s_or_b32 exec_lo, exec_lo, s72
	s_delay_alu instid0(SALU_CYCLE_1) | instskip(NEXT) | instid1(SALU_CYCLE_1)
	s_and_b32 s13, exec_lo, s61
	s_or_b32 s29, s13, s29
	s_and_not1_b32 s13, s60, exec_lo
	s_and_b32 s60, s62, exec_lo
	s_delay_alu instid0(SALU_CYCLE_1)
	s_or_b32 s60, s13, s60
	s_and_not1_b32 exec_lo, exec_lo, s29
	s_cbranch_execz .LBB2_1161
.LBB2_1157:                             ;   Parent Loop BB2_47 Depth=1
                                        ;     Parent Loop BB2_1151 Depth=2
                                        ; =>    This Inner Loop Header: Depth=3
	s_sleep 1
	s_wait_loadcnt_dscnt 0x0
	flat_load_b64 v[28:29], v[20:21] scope:SCOPE_SYS
	s_or_b32 s62, s62, exec_lo
	s_or_b32 s61, s61, exec_lo
                                        ; implicit-def: $vgpr9
	s_wait_xcnt 0x0
	s_and_saveexec_b32 s72, vcc_lo
	s_cbranch_execz .LBB2_1156
; %bb.1158:                             ;   in Loop: Header=BB2_1157 Depth=3
	s_cmp_lt_i32 s63, 0x270f
	s_mov_b32 s73, -1
	s_cselect_b32 s75, -1, 0
	s_cmp_gt_i32 s63, 0x270e
	s_cbranch_scc0 .LBB2_1160
; %bb.1159:                             ;   in Loop: Header=BB2_1157 Depth=3
	s_trap 2
	ds_load_b64 v[96:97], v0
	s_and_not1_b32 s63, s75, exec_lo
	s_mov_b32 s74, 0
	s_wait_storecnt 0x0
	s_wait_loadcnt_dscnt 0x0
	flat_load_b32 v9, v[96:97] scope:SCOPE_SYS
	s_wait_loadcnt_dscnt 0x0
	global_inv scope:SCOPE_SYS
	v_cmp_eq_u32_e64 s13, 0, v9
	s_and_b32 s13, s13, exec_lo
	s_delay_alu instid0(SALU_CYCLE_1)
	s_or_b32 s75, s63, s13
	s_mov_b32 s63, 0
	s_and_saveexec_b32 s76, s75
	s_cbranch_execz .LBB2_1155
	s_branch .LBB2_1154
.LBB2_1160:                             ;   in Loop: Header=BB2_1157 Depth=3
	s_add_co_i32 s63, s63, 1
	s_mov_b32 s74, -1
                                        ; implicit-def: $vgpr9
	s_and_saveexec_b32 s76, s75
	s_cbranch_execz .LBB2_1155
	s_branch .LBB2_1154
.LBB2_1161:                             ;   in Loop: Header=BB2_1151 Depth=2
	s_or_b32 exec_lo, exec_lo, s29
	s_xor_b32 s13, s60, -1
	s_delay_alu instid0(SALU_CYCLE_1) | instskip(NEXT) | instid1(SALU_CYCLE_1)
	s_and_saveexec_b32 s29, s13
	s_xor_b32 s13, exec_lo, s29
	s_cbranch_execz .LBB2_1163
; %bb.1162:                             ;   in Loop: Header=BB2_1151 Depth=2
	v_or_b32_e32 v30, 64, v30
	s_wait_storecnt 0x0
	s_wait_loadcnt_dscnt 0x0
	ds_store_b32 v0, v9
	s_trap 2
.LBB2_1163:                             ;   in Loop: Header=BB2_1151 Depth=2
	s_or_b32 exec_lo, exec_lo, s13
.LBB2_1164:                             ;   in Loop: Header=BB2_1151 Depth=2
	s_delay_alu instid0(SALU_CYCLE_1)
	s_or_b32 exec_lo, exec_lo, s20
	v_and_b32_e32 v9, 0x100, v30
	v_dual_mov_b32 v87, v2 :: v_dual_bitop2_b32 v86, 7, v86 bitop3:0x40
	s_mov_b32 s13, -1
	s_mov_b32 s20, exec_lo
	;;#ASMSTART
	s_wakeup
	;;#ASMEND
                                        ; implicit-def: $vgpr96_vgpr97
	v_cmpx_ne_u32_e32 0, v9
	s_cbranch_execz .LBB2_1168
; %bb.1165:                             ;   in Loop: Header=BB2_1151 Depth=2
	v_mad_nc_u64_u32 v[98:99], v86, 24, v[6:7]
	s_mov_b32 s29, exec_lo
                                        ; implicit-def: $vgpr96_vgpr97
	flat_load_b32 v9, v[98:99]
	s_wait_loadcnt_dscnt 0x0
	v_cmp_ne_u32_e32 vcc_lo, 1, v9
	s_wait_xcnt 0x0
	v_cmpx_eq_u32_e32 1, v9
	s_cbranch_execz .LBB2_1167
; %bb.1166:                             ;   in Loop: Header=BB2_1151 Depth=2
	flat_load_b32 v96, v[98:99] offset:4 scope:SCOPE_SYS
	s_wait_loadcnt_dscnt 0x0
	v_ashrrev_i32_e32 v97, 31, v96
	s_delay_alu instid0(VALU_DEP_1)
	v_lshrrev_b64 v[96:97], 2, v[96:97]
.LBB2_1167:                             ;   in Loop: Header=BB2_1151 Depth=2
	s_wait_xcnt 0x0
	s_or_b32 exec_lo, exec_lo, s29
	s_delay_alu instid0(SALU_CYCLE_1)
	s_or_not1_b32 s13, vcc_lo, exec_lo
.LBB2_1168:                             ;   in Loop: Header=BB2_1151 Depth=2
	s_or_b32 exec_lo, exec_lo, s20
	s_and_saveexec_b32 s20, s13
; %bb.1169:                             ;   in Loop: Header=BB2_1151 Depth=2
	v_mul_u64_e32 v[96:97], v[86:87], v[22:23]
; %bb.1170:                             ;   in Loop: Header=BB2_1151 Depth=2
	s_or_b32 exec_lo, exec_lo, s20
	v_and_b32_e32 v9, 0x2000, v30
	s_delay_alu instid0(VALU_DEP_2)
	v_lshl_add_u64 v[86:87], v[96:97], 2, v[24:25]
	s_mov_b32 s13, exec_lo
	ds_store_b64 v0, v[86:87] offset:720
	v_cmpx_ne_u32_e32 0, v9
	s_cbranch_execz .LBB2_1172
; %bb.1171:                             ;   in Loop: Header=BB2_1151 Depth=2
	ds_load_b64 v[86:87], v0 offset:872
	s_wait_dscnt 0x0
	v_add_nc_u64_e32 v[86:87], 1, v[86:87]
	ds_store_b64 v0, v[86:87] offset:872
.LBB2_1172:                             ;   in Loop: Header=BB2_1151 Depth=2
	s_or_b32 exec_lo, exec_lo, s13
	v_mov_b64_e32 v[86:87], v[10:11]
.LBB2_1173:                             ;   in Loop: Header=BB2_1151 Depth=2
	s_or_b32 exec_lo, exec_lo, s17
	s_xor_b32 s13, s16, -1
	s_delay_alu instid0(SALU_CYCLE_1) | instskip(NEXT) | instid1(SALU_CYCLE_1)
	s_and_b32 s13, exec_lo, s13
	s_or_b32 s15, s13, s15
	s_and_saveexec_b32 s13, s2
	s_cbranch_execz .LBB2_1192
; %bb.1174:                             ;   in Loop: Header=BB2_1151 Depth=2
	s_and_saveexec_b32 s16, s3
	s_delay_alu instid0(SALU_CYCLE_1)
	s_xor_b32 s16, exec_lo, s16
	s_cbranch_execz .LBB2_1189
; %bb.1175:                             ;   in Loop: Header=BB2_1151 Depth=2
	s_and_saveexec_b32 s17, s6
	s_cbranch_execz .LBB2_1188
; %bb.1176:                             ;   in Loop: Header=BB2_1151 Depth=2
	s_mov_b32 s29, exec_lo
	s_mov_b32 s20, exec_lo
	v_mbcnt_lo_u32_b32 v9, s29, 0
	global_wb scope:SCOPE_DEV
	s_wait_storecnt 0x0
	s_wait_loadcnt_dscnt 0x0
	global_inv scope:SCOPE_DEV
	v_cmpx_eq_u32_e32 0, v9
	s_cbranch_execz .LBB2_1178
; %bb.1177:                             ;   in Loop: Header=BB2_1151 Depth=2
	s_bcnt1_i32_b32 s29, s29
	s_delay_alu instid0(SALU_CYCLE_1)
	v_dual_mov_b32 v11, v2 :: v_dual_mov_b32 v10, s29
	s_wait_loadcnt 0x0
	ds_add_u64 v0, v[10:11]
	s_trap 2
.LBB2_1178:                             ;   in Loop: Header=BB2_1151 Depth=2
	s_or_b32 exec_lo, exec_lo, s20
	s_trap 2
	ds_load_b64 v[10:11], v0
	s_wait_dscnt 0x0
	v_add_nc_u64_e32 v[12:13], v[12:13], v[32:33]
	s_mov_b32 s20, exec_lo
	s_delay_alu instid0(VALU_DEP_1)
	v_cmpx_lt_u64_e64 v[10:11], v[12:13]
	s_cbranch_execz .LBB2_1187
; %bb.1179:                             ;   in Loop: Header=BB2_1151 Depth=2
	s_mov_b32 s29, 0
	s_mov_b32 s62, 0
                                        ; implicit-def: $sgpr60
                                        ; implicit-def: $sgpr61
	s_branch .LBB2_1181
.LBB2_1180:                             ;   in Loop: Header=BB2_1181 Depth=3
	s_or_b32 exec_lo, exec_lo, s72
	s_delay_alu instid0(SALU_CYCLE_1) | instskip(NEXT) | instid1(SALU_CYCLE_1)
	s_and_b32 s63, exec_lo, s73
	s_or_b32 s29, s63, s29
	s_and_not1_b32 s60, s60, exec_lo
	s_and_b32 s63, s61, exec_lo
	s_delay_alu instid0(SALU_CYCLE_1)
	s_or_b32 s60, s60, s63
	s_and_not1_b32 exec_lo, exec_lo, s29
	s_cbranch_execz .LBB2_1185
.LBB2_1181:                             ;   Parent Loop BB2_47 Depth=1
                                        ;     Parent Loop BB2_1151 Depth=2
                                        ; =>    This Inner Loop Header: Depth=3
	s_add_co_i32 s62, s62, 1
	s_delay_alu instid0(SALU_CYCLE_1) | instskip(SKIP_1) | instid1(SALU_CYCLE_1)
	s_cmp_lg_u32 s62, 0x2710
	s_cselect_b32 s63, -1, 0
	s_and_b32 vcc_lo, exec_lo, s63
	s_cbranch_vccz .LBB2_1183
; %bb.1182:                             ;   in Loop: Header=BB2_1181 Depth=3
	s_mov_b32 s73, -1
	s_or_b32 s61, s61, exec_lo
	s_and_saveexec_b32 s72, s63
	s_cbranch_execz .LBB2_1180
	s_branch .LBB2_1184
.LBB2_1183:                             ;   in Loop: Header=BB2_1181 Depth=3
	s_trap 2
	ds_load_b64 v[10:11], v0
	s_and_not1_b32 s63, s63, exec_lo
	s_mov_b32 s62, 0
	s_wait_loadcnt_dscnt 0x0
	flat_load_b32 v9, v[10:11] scope:SCOPE_SYS
	s_wait_loadcnt_dscnt 0x0
	global_inv scope:SCOPE_SYS
	v_cmp_eq_u32_e32 vcc_lo, 0, v9
	s_and_b32 s72, vcc_lo, exec_lo
	s_delay_alu instid0(SALU_CYCLE_1)
	s_or_b32 s63, s63, s72
	s_mov_b32 s73, -1
	s_or_b32 s61, s61, exec_lo
	s_and_saveexec_b32 s72, s63
	s_cbranch_execz .LBB2_1180
.LBB2_1184:                             ;   in Loop: Header=BB2_1181 Depth=3
	s_sleep 1
	s_trap 2
	ds_load_b64 v[10:11], v0
	s_wait_dscnt 0x0
	s_and_not1_b32 s61, s61, exec_lo
	v_cmp_ge_u64_e32 vcc_lo, v[10:11], v[12:13]
	s_or_not1_b32 s73, vcc_lo, exec_lo
	s_branch .LBB2_1180
.LBB2_1185:                             ;   in Loop: Header=BB2_1151 Depth=2
	s_or_b32 exec_lo, exec_lo, s29
	s_and_saveexec_b32 s29, s60
	s_delay_alu instid0(SALU_CYCLE_1)
	s_xor_b32 s29, exec_lo, s29
	s_cbranch_execz .LBB2_1187
; %bb.1186:                             ;   in Loop: Header=BB2_1151 Depth=2
	ds_store_b32 v0, v59
	s_trap 2
.LBB2_1187:                             ;   in Loop: Header=BB2_1151 Depth=2
	s_or_b32 exec_lo, exec_lo, s20
	;;#ASMSTART
	s_wakeup
	;;#ASMEND
.LBB2_1188:                             ;   in Loop: Header=BB2_1151 Depth=2
	s_or_b32 exec_lo, exec_lo, s17
.LBB2_1189:                             ;   in Loop: Header=BB2_1151 Depth=2
	s_and_not1_saveexec_b32 s16, s16
	s_cbranch_execz .LBB2_1191
; %bb.1190:                             ;   in Loop: Header=BB2_1151 Depth=2
	global_wb scope:SCOPE_DEV
	s_wait_storecnt 0x0
	s_wait_loadcnt_dscnt 0x0
	global_inv scope:SCOPE_DEV
	s_barrier_signal -1
	s_barrier_wait -1
.LBB2_1191:                             ;   in Loop: Header=BB2_1151 Depth=2
	s_or_b32 exec_lo, exec_lo, s16
.LBB2_1192:                             ;   in Loop: Header=BB2_1151 Depth=2
	s_delay_alu instid0(SALU_CYCLE_1) | instskip(SKIP_1) | instid1(VALU_DEP_1)
	s_or_b32 exec_lo, exec_lo, s13
	v_sub_nc_u32_e32 v9, v3, v8
	v_min_i32_e32 v102, v102, v9
	s_and_saveexec_b32 s13, s12
	s_delay_alu instid0(SALU_CYCLE_1)
	s_xor_b32 s16, exec_lo, s13
	s_cbranch_execz .LBB2_1196
; %bb.1193:                             ;   in Loop: Header=BB2_1151 Depth=2
	s_trap 2
	ds_load_b32 v9, v0
	v_cmp_lt_i32_e32 vcc_lo, 0, v102
	s_wait_dscnt 0x0
	v_readfirstlane_b32 s13, v9
	v_and_b32_e32 v9, 16, v30
	s_cmp_eq_u32 s13, 0
	s_delay_alu instid0(VALU_DEP_1) | instskip(SKIP_1) | instid1(SALU_CYCLE_1)
	v_cmp_ne_u32_e64 s13, 0, v9
	s_cselect_b32 s17, -1, 0
	s_and_b32 s17, vcc_lo, s17
	s_delay_alu instid0(SALU_CYCLE_1) | instskip(NEXT) | instid1(SALU_CYCLE_1)
	s_and_b32 s17, s13, s17
	s_and_saveexec_b32 s13, s17
	s_cbranch_execz .LBB2_1195
; %bb.1194:                             ;   in Loop: Header=BB2_1151 Depth=2
	global_wb scope:SCOPE_SYS
	s_wait_loadcnt 0x0
	s_wait_storecnt 0x0
	global_inv scope:SCOPE_SYS
.LBB2_1195:                             ;   in Loop: Header=BB2_1151 Depth=2
	s_or_b32 exec_lo, exec_lo, s13
.LBB2_1196:                             ;   in Loop: Header=BB2_1151 Depth=2
	s_and_not1_saveexec_b32 s13, s16
	s_cbranch_execz .LBB2_1215
; %bb.1197:                             ;   in Loop: Header=BB2_1151 Depth=2
	s_and_saveexec_b32 s16, s3
	s_delay_alu instid0(SALU_CYCLE_1)
	s_xor_b32 s16, exec_lo, s16
	s_cbranch_execz .LBB2_1212
; %bb.1198:                             ;   in Loop: Header=BB2_1151 Depth=2
	s_and_saveexec_b32 s17, s6
	s_cbranch_execz .LBB2_1211
; %bb.1199:                             ;   in Loop: Header=BB2_1151 Depth=2
	s_mov_b32 s29, exec_lo
	s_mov_b32 s20, exec_lo
	v_mbcnt_lo_u32_b32 v9, s29, 0
	;;#ASMSTART
	s_waitcnt lgkmcnt(0) vmcnt(0)
	;;#ASMEND
	s_delay_alu instid0(VALU_DEP_1)
	v_cmpx_eq_u32_e32 0, v9
	s_cbranch_execz .LBB2_1201
; %bb.1200:                             ;   in Loop: Header=BB2_1151 Depth=2
	s_bcnt1_i32_b32 s29, s29
	s_delay_alu instid0(SALU_CYCLE_1)
	v_dual_mov_b32 v11, v2 :: v_dual_mov_b32 v10, s29
	s_wait_storecnt 0x0
	s_wait_loadcnt_dscnt 0x0
	ds_add_u64 v0, v[10:11]
	s_trap 2
.LBB2_1201:                             ;   in Loop: Header=BB2_1151 Depth=2
	s_or_b32 exec_lo, exec_lo, s20
	s_trap 2
	ds_load_b64 v[10:11], v0
	s_wait_dscnt 0x0
	v_add_nc_u64_e32 v[12:13], v[12:13], v[32:33]
	s_mov_b32 s20, exec_lo
	s_delay_alu instid0(VALU_DEP_1)
	v_cmpx_lt_u64_e64 v[10:11], v[12:13]
	s_cbranch_execz .LBB2_1210
; %bb.1202:                             ;   in Loop: Header=BB2_1151 Depth=2
	s_mov_b32 s29, 0
	s_mov_b32 s62, 0
                                        ; implicit-def: $sgpr60
                                        ; implicit-def: $sgpr61
	s_branch .LBB2_1204
.LBB2_1203:                             ;   in Loop: Header=BB2_1204 Depth=3
	s_or_b32 exec_lo, exec_lo, s72
	s_delay_alu instid0(SALU_CYCLE_1) | instskip(NEXT) | instid1(SALU_CYCLE_1)
	s_and_b32 s63, exec_lo, s73
	s_or_b32 s29, s63, s29
	s_and_not1_b32 s60, s60, exec_lo
	s_and_b32 s63, s61, exec_lo
	s_delay_alu instid0(SALU_CYCLE_1)
	s_or_b32 s60, s60, s63
	s_and_not1_b32 exec_lo, exec_lo, s29
	s_cbranch_execz .LBB2_1208
.LBB2_1204:                             ;   Parent Loop BB2_47 Depth=1
                                        ;     Parent Loop BB2_1151 Depth=2
                                        ; =>    This Inner Loop Header: Depth=3
	s_add_co_i32 s62, s62, 1
	s_delay_alu instid0(SALU_CYCLE_1) | instskip(SKIP_1) | instid1(SALU_CYCLE_1)
	s_cmp_lg_u32 s62, 0x2710
	s_cselect_b32 s63, -1, 0
	s_and_b32 vcc_lo, exec_lo, s63
	s_cbranch_vccz .LBB2_1206
; %bb.1205:                             ;   in Loop: Header=BB2_1204 Depth=3
	s_mov_b32 s73, -1
	s_or_b32 s61, s61, exec_lo
	s_and_saveexec_b32 s72, s63
	s_cbranch_execz .LBB2_1203
	s_branch .LBB2_1207
.LBB2_1206:                             ;   in Loop: Header=BB2_1204 Depth=3
	s_trap 2
	ds_load_b64 v[10:11], v0
	s_and_not1_b32 s63, s63, exec_lo
	s_mov_b32 s62, 0
	s_wait_storecnt 0x0
	s_wait_loadcnt_dscnt 0x0
	flat_load_b32 v9, v[10:11] scope:SCOPE_SYS
	s_wait_loadcnt_dscnt 0x0
	global_inv scope:SCOPE_SYS
	v_cmp_eq_u32_e32 vcc_lo, 0, v9
	s_and_b32 s72, vcc_lo, exec_lo
	s_delay_alu instid0(SALU_CYCLE_1)
	s_or_b32 s63, s63, s72
	s_mov_b32 s73, -1
	s_or_b32 s61, s61, exec_lo
	s_and_saveexec_b32 s72, s63
	s_cbranch_execz .LBB2_1203
.LBB2_1207:                             ;   in Loop: Header=BB2_1204 Depth=3
	s_sleep 1
	s_trap 2
	ds_load_b64 v[10:11], v0
	s_wait_dscnt 0x0
	s_and_not1_b32 s61, s61, exec_lo
	v_cmp_ge_u64_e32 vcc_lo, v[10:11], v[12:13]
	s_or_not1_b32 s73, vcc_lo, exec_lo
	s_branch .LBB2_1203
.LBB2_1208:                             ;   in Loop: Header=BB2_1151 Depth=2
	s_or_b32 exec_lo, exec_lo, s29
	s_and_saveexec_b32 s29, s60
	s_delay_alu instid0(SALU_CYCLE_1)
	s_xor_b32 s29, exec_lo, s29
	s_cbranch_execz .LBB2_1210
; %bb.1209:                             ;   in Loop: Header=BB2_1151 Depth=2
	ds_store_b32 v0, v59
	s_trap 2
.LBB2_1210:                             ;   in Loop: Header=BB2_1151 Depth=2
	s_or_b32 exec_lo, exec_lo, s20
	;;#ASMSTART
	s_wakeup
	;;#ASMEND
.LBB2_1211:                             ;   in Loop: Header=BB2_1151 Depth=2
	s_or_b32 exec_lo, exec_lo, s17
.LBB2_1212:                             ;   in Loop: Header=BB2_1151 Depth=2
	s_and_not1_saveexec_b32 s16, s16
	s_cbranch_execz .LBB2_1214
; %bb.1213:                             ;   in Loop: Header=BB2_1151 Depth=2
	;;#ASMSTART
	s_waitcnt lgkmcnt(0) vmcnt(0)
	;;#ASMEND
	s_barrier_signal -1
	s_barrier_wait -1
.LBB2_1214:                             ;   in Loop: Header=BB2_1151 Depth=2
	s_or_b32 exec_lo, exec_lo, s16
.LBB2_1215:                             ;   in Loop: Header=BB2_1151 Depth=2
	s_delay_alu instid0(SALU_CYCLE_1) | instskip(SKIP_2) | instid1(VALU_DEP_1)
	s_or_b32 exec_lo, exec_lo, s13
	v_and_b32_e32 v9, 32, v30
	s_mov_b32 s13, exec_lo
	v_cmpx_ne_u32_e32 0, v9
	s_cbranch_execz .LBB2_1150
; %bb.1216:                             ;   in Loop: Header=BB2_1151 Depth=2
	v_add_nc_u64_e32 v[86:87], 2, v[86:87]
	global_wb scope:SCOPE_SYS
	s_wait_storecnt 0x0
	s_wait_loadcnt_dscnt 0x0
	flat_store_b64 v[20:21], v[86:87] scope:SCOPE_SYS
	s_branch .LBB2_1150
.LBB2_1217:
	s_or_b32 exec_lo, exec_lo, s59
.LBB2_1218:
	s_delay_alu instid0(SALU_CYCLE_1) | instskip(SKIP_2) | instid1(VALU_DEP_1)
	s_or_b32 exec_lo, exec_lo, s43
	v_and_b32_e32 v0, 0x800, v30
	s_mov_b32 s1, exec_lo
	v_cmpx_eq_u32_e32 0, v0
	s_cbranch_execz .LBB2_1251
; %bb.1219:
	v_and_b32_e32 v0, 48, v30
	s_mov_b32 s0, exec_lo
	s_delay_alu instid0(VALU_DEP_1)
	v_cmpx_ne_u32_e32 0, v0
	s_cbranch_execz .LBB2_1221
; %bb.1220:
	flat_store_b64 v[18:19], v[86:87] offset:104
.LBB2_1221:
	s_wait_xcnt 0x0
	s_or_b32 exec_lo, exec_lo, s0
	v_and_b32_e32 v0, 0x88, v30
	s_mov_b32 s2, exec_lo
	s_delay_alu instid0(VALU_DEP_1)
	v_cmpx_eq_u32_e32 0x88, v0
	s_cbranch_execz .LBB2_1231
; %bb.1222:
	v_add_nc_u32_e32 v0, 6, v86
	s_mov_b32 s3, 0
	s_delay_alu instid0(VALU_DEP_1) | instskip(NEXT) | instid1(VALU_DEP_1)
	v_and_b32_e32 v0, 7, v0
	v_mad_nc_u64_u32 v[2:3], v0, 24, v[6:7]
	v_and_b32_e32 v0, 64, v30
	s_delay_alu instid0(VALU_DEP_1)
	v_cmp_eq_u32_e64 s0, 0, v0
	flat_load_b64 v[4:5], v[2:3] offset:8 scope:SCOPE_SYS
	s_wait_loadcnt_dscnt 0x0
	v_cmp_ne_u64_e32 vcc_lo, -1, v[4:5]
	s_and_b32 s0, vcc_lo, s0
	s_wait_xcnt 0x0
	s_and_b32 exec_lo, exec_lo, s0
	s_cbranch_execz .LBB2_1231
; %bb.1223:
	s_mov_b32 s5, 0
                                        ; implicit-def: $sgpr0
                                        ; implicit-def: $sgpr4
	s_branch .LBB2_1226
.LBB2_1224:                             ;   in Loop: Header=BB2_1226 Depth=1
	flat_load_b64 v[4:5], v[2:3] offset:8 scope:SCOPE_SYS
	s_wait_loadcnt 0x0
	s_and_not1_b32 s4, s4, exec_lo
	s_wait_dscnt 0x0
	v_cmp_eq_u64_e32 vcc_lo, -1, v[4:5]
	s_or_not1_b32 s7, vcc_lo, exec_lo
.LBB2_1225:                             ;   in Loop: Header=BB2_1226 Depth=1
	s_wait_xcnt 0x0
	s_or_b32 exec_lo, exec_lo, s10
	s_delay_alu instid0(SALU_CYCLE_1) | instskip(NEXT) | instid1(SALU_CYCLE_1)
	s_and_b32 s6, exec_lo, s7
	s_or_b32 s3, s6, s3
	s_and_not1_b32 s0, s0, exec_lo
	s_and_b32 s6, s4, exec_lo
	s_delay_alu instid0(SALU_CYCLE_1)
	s_or_b32 s0, s0, s6
	s_and_not1_b32 exec_lo, exec_lo, s3
	s_cbranch_execz .LBB2_1229
.LBB2_1226:                             ; =>This Inner Loop Header: Depth=1
	s_cmp_lt_i32 s5, 0x270f
	s_cselect_b32 s6, -1, 0
	s_delay_alu instid0(SALU_CYCLE_1)
	s_and_b32 vcc_lo, exec_lo, s6
	s_cbranch_vccnz .LBB2_1228
; %bb.1227:                             ;   in Loop: Header=BB2_1226 Depth=1
	s_trap 2
	ds_load_b64 v[4:5], v0
	s_and_not1_b32 s6, s6, exec_lo
	s_mov_b32 s5, 0
	s_wait_storecnt_dscnt 0x0
	flat_load_b32 v0, v[4:5] scope:SCOPE_SYS
	s_wait_loadcnt_dscnt 0x0
	global_inv scope:SCOPE_SYS
	v_cmp_eq_u32_e32 vcc_lo, 0, v0
	s_and_b32 s7, vcc_lo, exec_lo
	s_delay_alu instid0(SALU_CYCLE_1)
	s_or_b32 s6, s6, s7
	s_mov_b32 s7, -1
	s_or_b32 s4, s4, exec_lo
	s_wait_xcnt 0x0
	s_and_saveexec_b32 s10, s6
	s_cbranch_execz .LBB2_1225
	s_branch .LBB2_1224
.LBB2_1228:                             ;   in Loop: Header=BB2_1226 Depth=1
	s_add_co_i32 s5, s5, 1
                                        ; implicit-def: $vgpr0
	s_mov_b32 s7, -1
	s_or_b32 s4, s4, exec_lo
	s_and_saveexec_b32 s10, s6
	s_cbranch_execz .LBB2_1225
	s_branch .LBB2_1224
.LBB2_1229:
	s_or_b32 exec_lo, exec_lo, s3
	s_and_saveexec_b32 s3, s0
	s_delay_alu instid0(SALU_CYCLE_1)
	s_xor_b32 s3, exec_lo, s3
	s_cbranch_execz .LBB2_1231
; %bb.1230:
	s_wait_loadcnt 0x0
	s_wait_storecnt 0x0
	ds_store_b32 v0, v0
	s_trap 2
.LBB2_1231:
	s_or_b32 exec_lo, exec_lo, s2
	v_and_b32_e32 v0, 0x2000, v30
	s_mov_b32 s0, exec_lo
	s_delay_alu instid0(VALU_DEP_1)
	v_cmpx_ne_u32_e32 0, v0
	s_cbranch_execz .LBB2_1233
; %bb.1232:
	s_trap 2
	ds_load_b64 v[2:3], v0
	s_wait_dscnt 0x0
	flat_store_b64 v[16:17], v[2:3] offset:16
.LBB2_1233:
	s_wait_xcnt 0x0
	s_or_b32 exec_lo, exec_lo, s0
	v_cmp_ne_u32_e32 vcc_lo, 32, v1
	s_and_b32 exec_lo, exec_lo, vcc_lo
	s_cbranch_execz .LBB2_1251
; %bb.1234:
	s_mov_b32 s0, exec_lo
	v_cmpx_ne_u32_e64 v1, v56
	s_xor_b32 s0, exec_lo, s0
	s_cbranch_execz .LBB2_1249
; %bb.1235:
	v_and_b32_e32 v0, 31, v31
	s_mov_b32 s2, exec_lo
	s_delay_alu instid0(VALU_DEP_1)
	v_cmpx_eq_u32_e32 0, v0
	s_cbranch_execz .LBB2_1248
; %bb.1236:
	s_mov_b32 s4, exec_lo
	s_mov_b32 s3, exec_lo
	v_mbcnt_lo_u32_b32 v0, s4, 0
	global_wb scope:SCOPE_DEV
	s_wait_storecnt 0x0
	s_wait_loadcnt_dscnt 0x0
	global_inv scope:SCOPE_DEV
	v_cmpx_eq_u32_e32 0, v0
	s_cbranch_execz .LBB2_1238
; %bb.1237:
	s_bcnt1_i32_b32 s4, s4
	s_delay_alu instid0(SALU_CYCLE_1)
	v_dual_mov_b32 v3, 0 :: v_dual_mov_b32 v2, s4
	s_wait_loadcnt 0x0
	ds_add_u64 v0, v[2:3]
	s_trap 2
.LBB2_1238:
	s_or_b32 exec_lo, exec_lo, s3
	s_trap 2
	ds_load_b64 v[2:3], v0
	s_wait_dscnt 0x0
	v_dual_mov_b32 v1, 0 :: v_dual_lshrrev_b32 v0, 5, v1
	s_mov_b32 s3, exec_lo
	s_delay_alu instid0(VALU_DEP_1) | instskip(NEXT) | instid1(VALU_DEP_1)
	v_add_nc_u64_e32 v[0:1], v[12:13], v[0:1]
	v_cmpx_lt_u64_e64 v[2:3], v[0:1]
	s_cbranch_execz .LBB2_1247
; %bb.1239:
	s_mov_b32 s4, 0
	s_mov_b32 s7, 0
                                        ; implicit-def: $sgpr5
                                        ; implicit-def: $sgpr6
	s_branch .LBB2_1241
.LBB2_1240:                             ;   in Loop: Header=BB2_1241 Depth=1
	s_or_b32 exec_lo, exec_lo, s11
	s_delay_alu instid0(SALU_CYCLE_1) | instskip(NEXT) | instid1(SALU_CYCLE_1)
	s_and_b32 s10, exec_lo, s12
	s_or_b32 s4, s10, s4
	s_and_not1_b32 s5, s5, exec_lo
	s_and_b32 s10, s6, exec_lo
	s_delay_alu instid0(SALU_CYCLE_1)
	s_or_b32 s5, s5, s10
	s_and_not1_b32 exec_lo, exec_lo, s4
	s_cbranch_execz .LBB2_1245
.LBB2_1241:                             ; =>This Inner Loop Header: Depth=1
	s_add_co_i32 s7, s7, 1
	s_delay_alu instid0(SALU_CYCLE_1) | instskip(SKIP_1) | instid1(SALU_CYCLE_1)
	s_cmp_lg_u32 s7, 0x2710
	s_cselect_b32 s10, -1, 0
	s_and_b32 vcc_lo, exec_lo, s10
	s_cbranch_vccz .LBB2_1243
; %bb.1242:                             ;   in Loop: Header=BB2_1241 Depth=1
	s_mov_b32 s12, -1
	s_or_b32 s6, s6, exec_lo
	s_and_saveexec_b32 s11, s10
	s_cbranch_execz .LBB2_1240
	s_branch .LBB2_1244
.LBB2_1243:                             ;   in Loop: Header=BB2_1241 Depth=1
	s_trap 2
	ds_load_b64 v[2:3], v0
	s_and_not1_b32 s10, s10, exec_lo
	s_mov_b32 s7, 0
	s_wait_loadcnt_dscnt 0x0
	flat_load_b32 v2, v[2:3] scope:SCOPE_SYS
	s_wait_loadcnt_dscnt 0x0
	global_inv scope:SCOPE_SYS
	v_cmp_eq_u32_e32 vcc_lo, 0, v2
	s_and_b32 s11, vcc_lo, exec_lo
	s_delay_alu instid0(SALU_CYCLE_1)
	s_or_b32 s10, s10, s11
	s_mov_b32 s12, -1
	s_or_b32 s6, s6, exec_lo
	s_and_saveexec_b32 s11, s10
	s_cbranch_execz .LBB2_1240
.LBB2_1244:                             ;   in Loop: Header=BB2_1241 Depth=1
	s_sleep 1
	s_trap 2
	ds_load_b64 v[2:3], v0
	s_wait_dscnt 0x0
	s_and_not1_b32 s6, s6, exec_lo
	v_cmp_ge_u64_e32 vcc_lo, v[2:3], v[0:1]
	s_or_not1_b32 s12, vcc_lo, exec_lo
	s_branch .LBB2_1240
.LBB2_1245:
	s_or_b32 exec_lo, exec_lo, s4
	s_and_saveexec_b32 s4, s5
	s_delay_alu instid0(SALU_CYCLE_1)
	s_xor_b32 s4, exec_lo, s4
	s_cbranch_execz .LBB2_1247
; %bb.1246:
	v_mov_b32_e32 v0, 1
	ds_store_b32 v0, v0
	s_trap 2
.LBB2_1247:
	s_or_b32 exec_lo, exec_lo, s3
	;;#ASMSTART
	s_wakeup
	;;#ASMEND
.LBB2_1248:
	s_or_b32 exec_lo, exec_lo, s2
.LBB2_1249:
	s_and_not1_saveexec_b32 s0, s0
	s_cbranch_execz .LBB2_1251
; %bb.1250:
	global_wb scope:SCOPE_DEV
	s_wait_storecnt 0x0
	s_wait_loadcnt_dscnt 0x0
	global_inv scope:SCOPE_DEV
	s_barrier_signal -1
	s_barrier_wait -1
.LBB2_1251:
	s_or_b32 exec_lo, exec_lo, s1
.LBB2_1252:
	s_and_not1_saveexec_b32 s21, s42
	s_cbranch_execz .LBB2_1254
; %bb.1253:
	s_get_pc_i64 s[0:1]
	s_add_nc_u64 s[0:1], s[0:1], __PRETTY_FUNCTION__._ZN10PrimitivesIj14FuncSumPostDivIjE12FanSymmetricILi1EELi0E11ProtoSimpleILi2ELi2ELi0ELi1ELi0ELi0EELi0ELb0ELi0ELi0ELi0EEC2EiiPKiS8_PKvPvmhhhP15ncclDevWorkCollP14ncclDevWorkP2pii@rel64+4
	s_get_pc_i64 s[2:3]
	s_add_nc_u64 s[2:3], s[2:3], __assert_fail@rel64+4
	v_dual_mov_b32 v0, s0 :: v_dual_mov_b32 v1, s1
	s_swap_pc_i64 s[30:31], s[2:3]
	; divergent unreachable
.LBB2_1254:
	s_or_b32 exec_lo, exec_lo, s21
	s_clause 0x23
	scratch_load_b32 v107, off, s33
	scratch_load_b32 v106, off, s33 offset:4
	scratch_load_b32 v105, off, s33 offset:8
	;; [unrolled: 1-line block ×35, first 2 shown]
	v_readlane_b32 s30, v108, 0
	v_readlane_b32 s31, v108, 1
	s_mov_b32 s32, s33
	s_wait_xcnt 0x0
	s_or_saveexec_b32 s0, -1
	scratch_load_b32 v108, off, s33 offset:144 ; 4-byte Folded Reload
	s_wait_xcnt 0x0
	s_mov_b32 exec_lo, s0
	s_mov_b32 s33, s79
	s_wait_loadcnt_dscnt 0x0
	s_set_pc_i64 s[30:31]
.Lfunc_end2:
	.size	_ZN12_GLOBAL__N_17runRingIj14FuncSumPostDivIjE11ProtoSimpleILi2ELi2ELi0ELi1ELi0ELi0EELi0ELi0ELi1ELi0EEEviiP15ncclDevWorkColl, .Lfunc_end2-_ZN12_GLOBAL__N_17runRingIj14FuncSumPostDivIjE11ProtoSimpleILi2ELi2ELi0ELi1ELi0ELi0EELi0ELi0ELi1ELi0EEEviiP15ncclDevWorkColl
                                        ; -- End function
	.set .L_ZN12_GLOBAL__N_17runRingIj14FuncSumPostDivIjE11ProtoSimpleILi2ELi2ELi0ELi1ELi0ELi0EELi0ELi0ELi1ELi0EEEviiP15ncclDevWorkColl.num_vgpr, max(120, .L__assert_fail.num_vgpr)
	.set .L_ZN12_GLOBAL__N_17runRingIj14FuncSumPostDivIjE11ProtoSimpleILi2ELi2ELi0ELi1ELi0ELi0EELi0ELi0ELi1ELi0EEEviiP15ncclDevWorkColl.num_agpr, max(0, .L__assert_fail.num_agpr)
	.set .L_ZN12_GLOBAL__N_17runRingIj14FuncSumPostDivIjE11ProtoSimpleILi2ELi2ELi0ELi1ELi0ELi0EELi0ELi0ELi1ELi0EEEviiP15ncclDevWorkColl.numbered_sgpr, max(80, .L__assert_fail.numbered_sgpr)
	.set .L_ZN12_GLOBAL__N_17runRingIj14FuncSumPostDivIjE11ProtoSimpleILi2ELi2ELi0ELi1ELi0ELi0EELi0ELi0ELi1ELi0EEEviiP15ncclDevWorkColl.num_named_barrier, max(0, .L__assert_fail.num_named_barrier)
	.set .L_ZN12_GLOBAL__N_17runRingIj14FuncSumPostDivIjE11ProtoSimpleILi2ELi2ELi0ELi1ELi0ELi0EELi0ELi0ELi1ELi0EEEviiP15ncclDevWorkColl.private_seg_size, 160+max(.L__assert_fail.private_seg_size)
	.set .L_ZN12_GLOBAL__N_17runRingIj14FuncSumPostDivIjE11ProtoSimpleILi2ELi2ELi0ELi1ELi0ELi0EELi0ELi0ELi1ELi0EEEviiP15ncclDevWorkColl.uses_vcc, or(1, .L__assert_fail.uses_vcc)
	.set .L_ZN12_GLOBAL__N_17runRingIj14FuncSumPostDivIjE11ProtoSimpleILi2ELi2ELi0ELi1ELi0ELi0EELi0ELi0ELi1ELi0EEEviiP15ncclDevWorkColl.uses_flat_scratch, or(1, .L__assert_fail.uses_flat_scratch)
	.set .L_ZN12_GLOBAL__N_17runRingIj14FuncSumPostDivIjE11ProtoSimpleILi2ELi2ELi0ELi1ELi0ELi0EELi0ELi0ELi1ELi0EEEviiP15ncclDevWorkColl.has_dyn_sized_stack, or(0, .L__assert_fail.has_dyn_sized_stack)
	.set .L_ZN12_GLOBAL__N_17runRingIj14FuncSumPostDivIjE11ProtoSimpleILi2ELi2ELi0ELi1ELi0ELi0EELi0ELi0ELi1ELi0EEEviiP15ncclDevWorkColl.has_recursion, or(1, .L__assert_fail.has_recursion)
	.set .L_ZN12_GLOBAL__N_17runRingIj14FuncSumPostDivIjE11ProtoSimpleILi2ELi2ELi0ELi1ELi0ELi0EELi0ELi0ELi1ELi0EEEviiP15ncclDevWorkColl.has_indirect_call, or(0, .L__assert_fail.has_indirect_call)
	.section	.AMDGPU.csdata,"",@progbits
; Function info:
; codeLenInByte = 44792
; TotalNumSgprs: 82
; NumVgprs: 120
; ScratchSize: 224
; MemoryBound: 1
	.text
	.p2align	2                               ; -- Begin function _Z54ncclDevFunc_AllReduce_RING_SIMPLE_SumPostDiv_u32_0_0_1v
	.type	_Z54ncclDevFunc_AllReduce_RING_SIMPLE_SumPostDiv_u32_0_0_1v,@function
_Z54ncclDevFunc_AllReduce_RING_SIMPLE_SumPostDiv_u32_0_0_1v: ; @_Z54ncclDevFunc_AllReduce_RING_SIMPLE_SumPostDiv_u32_0_0_1v
; %bb.0:
	s_wait_loadcnt_dscnt 0x0
	s_wait_kmcnt 0x0
	s_mov_b32 s95, s33
	s_mov_b32 s33, s32
	s_or_saveexec_b32 s0, -1
	scratch_store_b32 off, v42, s33 offset:12 ; 4-byte Folded Spill
	s_wait_xcnt 0x0
	s_mov_b32 exec_lo, s0
	s_add_co_i32 s32, s32, 32
	s_clause 0x2
	scratch_store_b32 off, v40, s33 offset:8
	; meta instruction
	scratch_store_b32 off, v41, s33 offset:4
	; meta instruction
	scratch_store_b32 off, v108, s33
	v_writelane_b32 v42, s30, 0
	v_writelane_b32 v42, s31, 1
	s_trap 2
	ds_load_b32 v0, v0
	s_wait_xcnt 0x2
	v_mov_b32_e32 v40, v31
	s_mov_b32 s90, s12
	s_mov_b64 s[88:89], s[8:9]
	s_mov_b32 s2, exec_lo
	s_wait_xcnt 0x1
	v_and_b32_e32 v41, 0x3ff, v40
	s_wait_dscnt 0x0
	s_wait_xcnt 0x0
	s_delay_alu instid0(VALU_DEP_1)
	v_cmpx_lt_i32_e64 v41, v0
	s_cbranch_execz .LBB3_5
; %bb.1:
	s_load_b32 s0, s[88:89], 0x0
	s_bfe_u32 s1, ttmp6, 0x4000c
	s_and_b32 s3, ttmp6, 15
	s_add_co_i32 s1, s1, 1
	s_getreg_b32 s4, hwreg(HW_REG_IB_STS2, 6, 4)
	s_mul_i32 s1, ttmp9, s1
	v_mov_b32_e32 v2, v41
	s_add_co_i32 s3, s3, s1
	s_cmp_eq_u32 s4, 0
                                        ; implicit-def: $vgpr3
	s_cselect_b32 s1, ttmp9, s3
	s_wait_kmcnt 0x0
	s_cmp_lt_u32 s1, s0
	s_mov_b32 s1, 0
	s_cselect_b32 s0, 12, 18
	s_delay_alu instid0(SALU_CYCLE_1)
	s_add_nc_u64 s[4:5], s[88:89], s[0:1]
	s_load_u16 s0, s[4:5], 0x0
	s_trap 2
	ds_load_b32 v1, v0
	s_wait_dscnt 0x0
	s_wait_kmcnt 0x0
	v_mul_lo_u32 v1, v1, s0
	s_branch .LBB3_3
.LBB3_2:                                ;   in Loop: Header=BB3_3 Depth=1
	s_wait_xcnt 0x0
	s_or_b32 exec_lo, exec_lo, s3
	v_dual_add_nc_u32 v2, s0, v2 :: v_dual_add_nc_u32 v3, v3, v1
	s_delay_alu instid0(VALU_DEP_1) | instskip(SKIP_1) | instid1(SALU_CYCLE_1)
	v_cmp_ge_i32_e32 vcc_lo, v2, v0
	s_or_b32 s1, vcc_lo, s1
	s_and_not1_b32 exec_lo, exec_lo, s1
	s_cbranch_execz .LBB3_5
.LBB3_3:                                ; =>This Inner Loop Header: Depth=1
	ds_load_b32 v4, v3
	s_mov_b32 s3, exec_lo
	s_wait_dscnt 0x0
	v_and_b32_e32 v4, 0x1000000, v4
	s_delay_alu instid0(VALU_DEP_1)
	v_cmpx_ne_u32_e32 0, v4
	s_cbranch_execz .LBB3_2
; %bb.4:                                ;   in Loop: Header=BB3_3 Depth=1
	ds_load_b64 v[4:5], v3 offset:104
	s_wait_dscnt 0x0
	flat_load_b64 v[4:5], v[4:5]
	s_wait_loadcnt_dscnt 0x0
	ds_store_b64 v3, v[4:5] offset:104
	s_branch .LBB3_2
.LBB3_5:
	s_or_b32 exec_lo, exec_lo, s2
	s_wait_storecnt_dscnt 0x0
	s_barrier_signal -1
	s_barrier_wait -1
	s_trap 2
	ds_load_b32 v0, v0
	s_wait_dscnt 0x0
	v_cmp_gt_i32_e32 vcc_lo, 1, v0
	s_cbranch_vccnz .LBB3_13
; %bb.6:
	s_mov_b32 s91, 0
	s_get_pc_i64 s[92:93]
	s_add_nc_u64 s[92:93], s[92:93], _ZN12_GLOBAL__N_17runRingIj14FuncSumPostDivIjE11ProtoSimpleILi2ELi2ELi0ELi1ELi0ELi0EELi0ELi0ELi1ELi0EEEviiP15ncclDevWorkColl@rel64+4
	s_branch .LBB3_8
.LBB3_7:                                ;   in Loop: Header=BB3_8 Depth=1
	s_or_b32 exec_lo, exec_lo, s94
	s_trap 2
	ds_load_b32 v0, v0
	s_add_co_i32 s91, s91, 1
	s_wait_dscnt 0x0
	v_cmp_lt_i32_e32 vcc_lo, s91, v0
	s_cbranch_vccz .LBB3_13
.LBB3_8:                                ; =>This Inner Loop Header: Depth=1
	s_trap 2
	ds_load_b32 v0, v0
	s_cmp_eq_u32 s91, 0
	s_cbranch_scc1 .LBB3_11
; %bb.9:                                ;   in Loop: Header=BB3_8 Depth=1
	s_trap 2
	s_wait_dscnt 0x0
	ds_load_b32 v1, v0
	s_wait_dscnt 0x0
	v_xor_b32_e32 v1, v1, v0
	s_delay_alu instid0(VALU_DEP_1) | instskip(NEXT) | instid1(VALU_DEP_1)
	v_and_b32_e32 v1, 0xff0000, v1
	v_cmp_eq_u32_e32 vcc_lo, 0, v1
	s_cbranch_vccnz .LBB3_11
; %bb.10:                               ;   in Loop: Header=BB3_8 Depth=1
	s_barrier_signal -1
	s_barrier_wait -1
	ds_load_b32 v0, v0
.LBB3_11:                               ;   in Loop: Header=BB3_8 Depth=1
	s_wait_dscnt 0x0
	v_lshrrev_b32_e32 v0, 11, v0
	s_mov_b32 s94, exec_lo
	s_delay_alu instid0(VALU_DEP_1) | instskip(NEXT) | instid1(VALU_DEP_1)
	v_and_b32_e32 v1, 0x1fe0, v0
	v_cmpx_lt_u32_e64 v41, v1
	s_cbranch_execz .LBB3_7
; %bb.12:                               ;   in Loop: Header=BB3_8 Depth=1
	s_mov_b64 s[0:1], src_shared_base
	v_dual_mov_b32 v31, v40 :: v_dual_mov_b32 v0, v41
	v_mov_b32_e32 v3, s1
	s_mov_b64 s[8:9], s[88:89]
	s_mov_b32 s12, s90
	s_swap_pc_i64 s[30:31], s[92:93]
	s_branch .LBB3_7
.LBB3_13:
	s_clause 0x2
	scratch_load_b32 v108, off, s33
	scratch_load_b32 v41, off, s33 offset:4
	scratch_load_b32 v40, off, s33 offset:8
	v_readlane_b32 s30, v42, 0
	v_readlane_b32 s31, v42, 1
	s_mov_b32 s32, s33
	s_wait_xcnt 0x0
	s_or_saveexec_b32 s0, -1
	scratch_load_b32 v42, off, s33 offset:12 ; 4-byte Folded Reload
	s_wait_xcnt 0x0
	s_mov_b32 exec_lo, s0
	s_mov_b32 s33, s95
	s_wait_loadcnt 0x0
	s_set_pc_i64 s[30:31]
.Lfunc_end3:
	.size	_Z54ncclDevFunc_AllReduce_RING_SIMPLE_SumPostDiv_u32_0_0_1v, .Lfunc_end3-_Z54ncclDevFunc_AllReduce_RING_SIMPLE_SumPostDiv_u32_0_0_1v
                                        ; -- End function
	.set .L_Z54ncclDevFunc_AllReduce_RING_SIMPLE_SumPostDiv_u32_0_0_1v.num_vgpr, max(109, .L_ZN12_GLOBAL__N_17runRingIj14FuncSumPostDivIjE11ProtoSimpleILi2ELi2ELi0ELi1ELi0ELi0EELi0ELi0ELi1ELi0EEEviiP15ncclDevWorkColl.num_vgpr)
	.set .L_Z54ncclDevFunc_AllReduce_RING_SIMPLE_SumPostDiv_u32_0_0_1v.num_agpr, max(0, .L_ZN12_GLOBAL__N_17runRingIj14FuncSumPostDivIjE11ProtoSimpleILi2ELi2ELi0ELi1ELi0ELi0EELi0ELi0ELi1ELi0EEEviiP15ncclDevWorkColl.num_agpr)
	.set .L_Z54ncclDevFunc_AllReduce_RING_SIMPLE_SumPostDiv_u32_0_0_1v.numbered_sgpr, max(96, .L_ZN12_GLOBAL__N_17runRingIj14FuncSumPostDivIjE11ProtoSimpleILi2ELi2ELi0ELi1ELi0ELi0EELi0ELi0ELi1ELi0EEEviiP15ncclDevWorkColl.numbered_sgpr)
	.set .L_Z54ncclDevFunc_AllReduce_RING_SIMPLE_SumPostDiv_u32_0_0_1v.num_named_barrier, max(0, .L_ZN12_GLOBAL__N_17runRingIj14FuncSumPostDivIjE11ProtoSimpleILi2ELi2ELi0ELi1ELi0ELi0EELi0ELi0ELi1ELi0EEEviiP15ncclDevWorkColl.num_named_barrier)
	.set .L_Z54ncclDevFunc_AllReduce_RING_SIMPLE_SumPostDiv_u32_0_0_1v.private_seg_size, 32+max(.L_ZN12_GLOBAL__N_17runRingIj14FuncSumPostDivIjE11ProtoSimpleILi2ELi2ELi0ELi1ELi0ELi0EELi0ELi0ELi1ELi0EEEviiP15ncclDevWorkColl.private_seg_size)
	.set .L_Z54ncclDevFunc_AllReduce_RING_SIMPLE_SumPostDiv_u32_0_0_1v.uses_vcc, or(1, .L_ZN12_GLOBAL__N_17runRingIj14FuncSumPostDivIjE11ProtoSimpleILi2ELi2ELi0ELi1ELi0ELi0EELi0ELi0ELi1ELi0EEEviiP15ncclDevWorkColl.uses_vcc)
	.set .L_Z54ncclDevFunc_AllReduce_RING_SIMPLE_SumPostDiv_u32_0_0_1v.uses_flat_scratch, or(1, .L_ZN12_GLOBAL__N_17runRingIj14FuncSumPostDivIjE11ProtoSimpleILi2ELi2ELi0ELi1ELi0ELi0EELi0ELi0ELi1ELi0EEEviiP15ncclDevWorkColl.uses_flat_scratch)
	.set .L_Z54ncclDevFunc_AllReduce_RING_SIMPLE_SumPostDiv_u32_0_0_1v.has_dyn_sized_stack, or(0, .L_ZN12_GLOBAL__N_17runRingIj14FuncSumPostDivIjE11ProtoSimpleILi2ELi2ELi0ELi1ELi0ELi0EELi0ELi0ELi1ELi0EEEviiP15ncclDevWorkColl.has_dyn_sized_stack)
	.set .L_Z54ncclDevFunc_AllReduce_RING_SIMPLE_SumPostDiv_u32_0_0_1v.has_recursion, or(1, .L_ZN12_GLOBAL__N_17runRingIj14FuncSumPostDivIjE11ProtoSimpleILi2ELi2ELi0ELi1ELi0ELi0EELi0ELi0ELi1ELi0EEEviiP15ncclDevWorkColl.has_recursion)
	.set .L_Z54ncclDevFunc_AllReduce_RING_SIMPLE_SumPostDiv_u32_0_0_1v.has_indirect_call, or(0, .L_ZN12_GLOBAL__N_17runRingIj14FuncSumPostDivIjE11ProtoSimpleILi2ELi2ELi0ELi1ELi0ELi0EELi0ELi0ELi1ELi0EEEviiP15ncclDevWorkColl.has_indirect_call)
	.section	.AMDGPU.csdata,"",@progbits
; Function info:
; codeLenInByte = 740
; TotalNumSgprs: 98
; NumVgprs: 120
; ScratchSize: 256
; MemoryBound: 0
	.text
	.p2align	2                               ; -- Begin function _ZN12_GLOBAL__N_17runRingIj14FuncSumPostDivIjE11ProtoSimpleILi2ELi2ELi0ELi2ELi0ELi0EELi0ELi0ELi2ELi0EEEviiP15ncclDevWorkColl
	.type	_ZN12_GLOBAL__N_17runRingIj14FuncSumPostDivIjE11ProtoSimpleILi2ELi2ELi0ELi2ELi0ELi0EELi0ELi0ELi2ELi0EEEviiP15ncclDevWorkColl,@function
_ZN12_GLOBAL__N_17runRingIj14FuncSumPostDivIjE11ProtoSimpleILi2ELi2ELi0ELi2ELi0ELi0EELi0ELi0ELi2ELi0EEEviiP15ncclDevWorkColl: ; @_ZN12_GLOBAL__N_17runRingIj14FuncSumPostDivIjE11ProtoSimpleILi2ELi2ELi0ELi2ELi0ELi0EELi0ELi0ELi2ELi0EEEviiP15ncclDevWorkColl
; %bb.0:
	s_wait_loadcnt_dscnt 0x0
	s_wait_kmcnt 0x0
	s_mov_b32 s79, s33
	s_mov_b32 s33, s32
	s_or_saveexec_b32 s0, -1
	scratch_store_b32 off, v126, s33 offset:192 ; 4-byte Folded Spill
	s_wait_xcnt 0x0
	s_mov_b32 exec_lo, s0
	s_addk_co_i32 s32, 0xd0
	s_clause 0x2d
	scratch_store_b32 off, v40, s33 offset:180
	; meta instruction
	scratch_store_b32 off, v41, s33 offset:176
	; meta instruction
	;; [unrolled: 2-line block ×45, first 2 shown]
	scratch_store_b32 off, v125, s33
	v_writelane_b32 v126, s30, 0
	v_writelane_b32 v126, s31, 1
	s_trap 2
	flat_load_b32 v7, v[2:3]
	ds_load_b32 v6, v0
	s_mov_b32 s0, exec_lo
                                        ; implicit-def: $vgpr14_vgpr15
                                        ; implicit-def: $vgpr24_vgpr25
                                        ; implicit-def: $vgpr4_vgpr5
	s_wait_dscnt 0x0
	v_readfirstlane_b32 s22, v6
	s_wait_loadcnt 0x0
	v_and_b32_e32 v8, 0xff, v7
	s_wait_xcnt 0x0
	s_delay_alu instid0(VALU_DEP_1)
	v_cmpx_ne_u32_e64 v6, v8
	s_xor_b32 s0, exec_lo, s0
	s_cbranch_execz .LBB4_6
; %bb.1:
	v_bfe_u32 v9, v7, 8, 8
	v_not_b32_e32 v8, v8
	s_mov_b32 s1, exec_lo
                                        ; implicit-def: $vgpr14_vgpr15
                                        ; implicit-def: $vgpr24_vgpr25
                                        ; implicit-def: $vgpr4_vgpr5
	s_delay_alu instid0(VALU_DEP_2)
	v_cmpx_ne_u32_e64 v6, v9
	s_xor_b32 s1, exec_lo, s1
	s_cbranch_execz .LBB4_3
; %bb.2:
	s_clause 0x1
	flat_load_b128 v[10:13], v[2:3] offset:72
	flat_load_b64 v[4:5], v[2:3] offset:96
	v_add_nc_u32_e32 v6, v6, v8
                                        ; implicit-def: $vgpr9
                                        ; implicit-def: $vgpr8
	s_wait_loadcnt_dscnt 0x101
	s_delay_alu instid0(VALU_DEP_1) | instskip(SKIP_3) | instid1(VALU_DEP_3)
	v_mad_nc_u64_u32 v[24:25], v12, v6, v[10:11]
	s_wait_loadcnt_dscnt 0x0
	v_lshrrev_b64 v[14:15], 14, v[4:5]
	v_mov_b64_e32 v[4:5], v[12:13]
	v_mad_u32 v7, v13, v6, v25
	v_ashrrev_i32_e32 v6, 31, v6
	s_delay_alu instid0(VALU_DEP_1)
	v_mad_u32 v25, v12, v6, v7
.LBB4_3:
	s_wait_xcnt 0x0
	s_and_not1_saveexec_b32 s1, s1
	s_cbranch_execz .LBB4_5
; %bb.4:
	s_clause 0x1
	flat_load_b128 v[10:13], v[2:3] offset:72
	flat_load_b128 v[4:7], v[2:3] offset:88
	s_wait_loadcnt_dscnt 0x0
	v_dual_add_nc_u32 v6, v9, v8 :: v_dual_lshrrev_b32 v14, 3, v7
	s_delay_alu instid0(VALU_DEP_1) | instskip(NEXT) | instid1(VALU_DEP_1)
	v_mad_nc_u64_u32 v[24:25], v12, v6, v[10:11]
	v_mad_u32 v8, v13, v6, v25
	v_ashrrev_i32_e32 v6, 31, v6
	s_delay_alu instid0(VALU_DEP_1)
	v_mad_u32 v25, v12, v6, v8
.LBB4_5:
	s_wait_xcnt 0x0
	s_or_b32 exec_lo, exec_lo, s1
.LBB4_6:
	s_and_not1_saveexec_b32 s0, s0
	s_cbranch_execz .LBB4_8
; %bb.7:
	s_clause 0x1
	flat_load_b64 v[6:7], v[2:3] offset:96
	flat_load_b64 v[4:5], v[2:3] offset:72
	v_mov_b64_e32 v[24:25], 0
	s_wait_loadcnt_dscnt 0x101
	v_lshlrev_b64_e32 v[14:15], 7, v[6:7]
.LBB4_8:
	s_wait_xcnt 0x0
	s_or_b32 exec_lo, exec_lo, s0
	s_trap 2
	ds_load_b64 v[6:7], v0
	s_mov_b32 s1, 0
	s_mov_b32 s2, exec_lo
	s_wait_dscnt 0x0
	v_cmp_ne_u32_e32 vcc_lo, -1, v6
	v_cndmask_b32_e64 v15, 0, 1, vcc_lo
	v_cmp_ne_u32_e32 vcc_lo, -1, v7
	s_delay_alu instid0(VALU_DEP_2) | instskip(NEXT) | instid1(VALU_DEP_1)
	v_add_co_ci_u32_e64 v8, null, 0, v15, vcc_lo
	v_lshlrev_b32_e32 v6, 1, v8
	s_delay_alu instid0(VALU_DEP_1)
	v_cmpx_le_u32_e64 v6, v1
	s_xor_b32 s46, exec_lo, s2
	s_cbranch_execz .LBB4_1248
; %bb.9:
	s_clause 0x3
	flat_load_b128 v[10:13], v[2:3] offset:16
	flat_load_b64 v[16:17], v[2:3] offset:104
	flat_load_u16 v7, v[2:3] offset:8
	flat_load_b32 v6, v[2:3] offset:4
	s_trap 2
	s_load_b32 s0, s[8:9], 0x0
	s_bfe_u32 s2, ttmp6, 0x4000c
	s_and_b32 s3, ttmp6, 15
	s_add_co_i32 s2, s2, 1
	s_getreg_b32 s4, hwreg(HW_REG_IB_STS2, 6, 4)
	s_mul_i32 s2, ttmp9, s2
	v_dual_mov_b32 v9, 0 :: v_dual_mov_b32 v30, 4
	s_add_co_i32 s3, s3, s2
	s_cmp_eq_u32 s4, 0
	s_cselect_b32 s2, ttmp9, s3
	s_wait_kmcnt 0x0
	s_cmp_lt_u32 s2, s0
	s_cselect_b32 s0, 12, 18
	s_delay_alu instid0(SALU_CYCLE_1)
	s_add_nc_u64 s[0:1], s[8:9], s[0:1]
	global_load_u16 v18, v9, s[0:1]
	s_wait_xcnt 0x0
	ds_load_b32 v9, v0
	s_mov_b32 s1, exec_lo
	s_wait_dscnt 0x0
	v_readfirstlane_b32 s6, v9
	v_cmpx_ge_u32_e64 v0, v15
	s_cbranch_execz .LBB4_19
; %bb.10:
	v_cmp_ge_u32_e64 s0, v0, v8
                                        ; implicit-def: $vgpr30
	s_and_saveexec_b32 s2, s0
	s_delay_alu instid0(SALU_CYCLE_1)
	s_xor_b32 s0, exec_lo, s2
	s_cbranch_execz .LBB4_16
; %bb.11:
	v_cndmask_b32_e64 v9, 0, 1, vcc_lo
	s_mov_b32 s2, exec_lo
	s_delay_alu instid0(VALU_DEP_1) | instskip(NEXT) | instid1(VALU_DEP_1)
	v_sub_nc_u32_e32 v9, v1, v9
	v_cmpx_ge_u32_e64 v0, v9
	s_xor_b32 s2, exec_lo, s2
; %bb.12:
                                        ; implicit-def: $vgpr8
; %bb.13:
	s_delay_alu instid0(SALU_CYCLE_1)
	s_or_saveexec_b32 s2, s2
	v_mov_b32_e32 v30, 16
	s_xor_b32 exec_lo, exec_lo, s2
; %bb.14:
	v_sub_nc_u32_e32 v8, v1, v8
	s_delay_alu instid0(VALU_DEP_1)
	v_cmp_lt_i32_e32 vcc_lo, v0, v8
	v_cndmask_b32_e64 v30, 32, 0, vcc_lo
; %bb.15:
	s_or_b32 exec_lo, exec_lo, s2
.LBB4_16:
	s_and_not1_saveexec_b32 s0, s0
; %bb.17:
	v_mov_b32_e32 v30, 8
; %bb.18:
	s_or_b32 exec_lo, exec_lo, s0
.LBB4_19:
	s_delay_alu instid0(SALU_CYCLE_1) | instskip(NEXT) | instid1(VALU_DEP_1)
	s_or_b32 exec_lo, exec_lo, s1
	v_dual_mov_b32 v19, -1 :: v_dual_bitop2_b32 v8, 36, v30 bitop3:0x40
	s_delay_alu instid0(VALU_DEP_1)
	v_cmp_ne_u32_e32 vcc_lo, 0, v8
	s_and_saveexec_b32 s0, vcc_lo
	s_cbranch_execz .LBB4_21
; %bb.20:
	s_trap 2
	ds_load_b32 v19, v0
.LBB4_21:
	s_or_b32 exec_lo, exec_lo, s0
	v_and_b32_e32 v8, 24, v30
	s_mov_b32 s1, exec_lo
	s_delay_alu instid0(VALU_DEP_1)
	v_cmpx_ne_u32_e32 0, v8
	s_cbranch_execz .LBB4_23
; %bb.22:
	s_trap 2
	s_wait_dscnt 0x0
	ds_load_b32 v19, v0
.LBB4_23:
	s_or_b32 exec_lo, exec_lo, s1
	s_wait_loadcnt 0x1
	v_lshrrev_b64 v[8:9], 31, v[6:7]
	v_mov_b64_e32 v[28:29], 0
	v_mov_b64_e32 v[6:7], 0
                                        ; implicit-def: $vgpr34
                                        ; implicit-def: $vgpr114_vgpr115
                                        ; implicit-def: $vgpr36_vgpr37
                                        ; implicit-def: $vgpr50_vgpr51
                                        ; implicit-def: $vgpr32_vgpr33
	s_delay_alu instid0(VALU_DEP_3)
	v_and_b32_e32 v20, 3, v8
                                        ; implicit-def: $vgpr8_vgpr9
                                        ; kill: killed $vgpr8_vgpr9
	s_and_saveexec_b32 s0, vcc_lo
	s_cbranch_execz .LBB4_33
; %bb.24:
	s_trap 2
	ds_load_b64 v[6:7], v0
	v_and_b32_e32 v8, 0xffff, v20
	s_wait_dscnt 0x0
	v_readfirstlane_b32 s2, v6
	v_readfirstlane_b32 s3, v7
	flat_load_b64 v[6:7], v19, s[2:3] scale_offset
	s_wait_loadcnt_dscnt 0x0
	v_mad_nc_u64_u32 v[8:9], 0xa8, v8, v[6:7]
	flat_load_b32 v6, v[8:9] offset:640
	s_wait_loadcnt_dscnt 0x0
	v_cmp_eq_u32_e32 vcc_lo, 1, v6
                                        ; implicit-def: $vgpr6_vgpr7
                                        ; kill: killed $vgpr6_vgpr7
	s_wait_xcnt 0x0
	s_and_saveexec_b32 s1, vcc_lo
	s_cbranch_execz .LBB4_26
; %bb.25:
	flat_load_b64 v[22:23], v[8:9] offset:648
	v_or_b32_e32 v30, 0x2000, v30
	s_wait_loadcnt_dscnt 0x0
	flat_load_b64 v[6:7], v[22:23]
	s_trap 2
	scratch_store_b64 off, v[22:23], s33 offset:184 ; 8-byte Folded Spill
	s_wait_loadcnt_dscnt 0x0
	ds_store_b64 v0, v[6:7]
	flat_load_b64 v[6:7], v[22:23] offset:8
	s_wait_loadcnt_dscnt 0x0
	ds_store_b64 v0, v[6:7]
	flat_load_b64 v[6:7], v[22:23] offset:16
	s_wait_loadcnt_dscnt 0x0
	ds_store_b64 v0, v[6:7]
.LBB4_26:
	s_wait_xcnt 0x0
	s_or_b32 exec_lo, exec_lo, s1
	flat_load_b64 v[6:7], v[8:9] offset:608
	s_mov_b32 s1, exec_lo
                                        ; implicit-def: $vgpr32_vgpr33
	s_wait_loadcnt_dscnt 0x0
	v_add_nc_u64_e32 v[114:115], 3, v[6:7]
	v_and_b32_e32 v6, 32, v30
	s_delay_alu instid0(VALU_DEP_2) | instskip(SKIP_1) | instid1(VALU_DEP_2)
	v_and_b32_e32 v114, -4, v114
	s_wait_xcnt 0x0
	v_cmpx_ne_u32_e32 0, v6
	s_cbranch_execz .LBB4_28
; %bb.27:
	flat_load_b64 v[32:33], v[8:9] offset:560
	global_wb scope:SCOPE_SYS
	s_wait_storecnt 0x0
	s_wait_xcnt 0x0
	s_wait_loadcnt_dscnt 0x0
	flat_store_b64 v[32:33], v[114:115] scope:SCOPE_SYS
.LBB4_28:
	s_wait_xcnt 0x0
	s_or_b32 exec_lo, exec_lo, s1
	v_add_nc_u64_e32 v[28:29], 0x1f8, v[8:9]
	v_mov_b64_e32 v[6:7], 0
	v_and_b32_e32 v21, 4, v30
	s_mov_b32 s1, exec_lo
                                        ; implicit-def: $vgpr34
                                        ; implicit-def: $vgpr36_vgpr37
                                        ; implicit-def: $vgpr50_vgpr51
	s_delay_alu instid0(VALU_DEP_1)
	v_cmpx_ne_u32_e32 0, v21
	s_cbranch_execz .LBB4_32
; %bb.29:
	v_and_b32_e32 v6, 0x800, v30
	s_mov_b32 s2, exec_lo
	s_delay_alu instid0(VALU_DEP_1)
	v_cmpx_eq_u32_e32 0, v6
	s_cbranch_execz .LBB4_31
; %bb.30:
	s_trap 2
	ds_store_b64 v0, v[28:29]
.LBB4_31:
	s_or_b32 exec_lo, exec_lo, s2
	flat_load_b64 v[32:33], v[8:9] offset:552
	s_wait_loadcnt_dscnt 0x0
	flat_load_b64 v[50:51], v[32:33] scope:SCOPE_SYS
	s_clause 0x2
	flat_load_b32 v21, v[8:9] offset:576
	flat_load_b64 v[6:7], v[8:9] offset:600
	flat_load_b64 v[36:37], v[8:9] offset:520
	s_wait_xcnt 0x0
	v_or_b32_e32 v8, 0x100, v30
	s_wait_loadcnt_dscnt 0x101
	v_cmp_eq_u64_e32 vcc_lo, 0, v[6:7]
	s_delay_alu instid0(VALU_DEP_2)
	v_dual_ashrrev_i32 v34, 2, v21 :: v_dual_cndmask_b32 v30, v8, v30, vcc_lo
.LBB4_32:
	s_or_b32 exec_lo, exec_lo, s1
.LBB4_33:
	s_delay_alu instid0(SALU_CYCLE_1) | instskip(NEXT) | instid1(VALU_DEP_1)
	s_or_b32 exec_lo, exec_lo, s0
	v_and_b32_e32 v8, 24, v30
	s_mov_b32 s0, exec_lo
                                        ; implicit-def: $vgpr38_vgpr39
	s_delay_alu instid0(VALU_DEP_1)
	v_cmpx_ne_u32_e32 0, v8
	s_cbranch_execz .LBB4_41
; %bb.34:
	s_trap 2
	ds_load_b64 v[6:7], v0
	v_and_b32_e32 v8, 0xffff, v20
	s_mov_b32 s1, exec_lo
                                        ; implicit-def: $vgpr38_vgpr39
	s_wait_dscnt 0x0
	v_readfirstlane_b32 s2, v6
	v_readfirstlane_b32 s3, v7
	flat_load_b64 v[6:7], v19, s[2:3] scale_offset
	s_wait_xcnt 0x0
	v_or_b32_e32 v19, 0x100, v30
	s_wait_loadcnt_dscnt 0x0
	v_mad_nc_u64_u32 v[28:29], 0xa8, v8, v[6:7]
	flat_load_b128 v[6:9], v[28:29] offset:96
	s_wait_loadcnt_dscnt 0x0
	v_cmp_eq_u64_e32 vcc_lo, 0, v[6:7]
	v_cndmask_b32_e32 v30, v19, v30, vcc_lo
	s_delay_alu instid0(VALU_DEP_1) | instskip(SKIP_1) | instid1(VALU_DEP_1)
	v_and_b32_e32 v19, 16, v30
	s_wait_xcnt 0x0
	v_cmpx_ne_u32_e32 0, v19
	s_cbranch_execz .LBB4_36
; %bb.35:
	s_clause 0x2
	flat_load_b64 v[32:33], v[28:29] offset:48
	flat_load_b64 v[38:39], v[28:29] offset:120
	;; [unrolled: 1-line block ×3, first 2 shown]
.LBB4_36:
	s_wait_xcnt 0x0
	s_or_b32 exec_lo, exec_lo, s1
	v_add_nc_u64_e32 v[114:115], 3, v[8:9]
	v_and_b32_e32 v8, 8, v30
	s_mov_b32 s1, exec_lo
	s_delay_alu instid0(VALU_DEP_2) | instskip(NEXT) | instid1(VALU_DEP_2)
	v_and_b32_e32 v114, -4, v114
	v_cmpx_ne_u32_e32 0, v8
	s_cbranch_execz .LBB4_40
; %bb.37:
	v_and_b32_e32 v8, 0x800, v30
	s_mov_b32 s2, exec_lo
	s_delay_alu instid0(VALU_DEP_1)
	v_cmpx_eq_u32_e32 0, v8
	s_cbranch_execz .LBB4_39
; %bb.38:
	s_trap 2
	ds_store_b64 v0, v[28:29]
.LBB4_39:
	s_or_b32 exec_lo, exec_lo, s2
	s_wait_loadcnt_dscnt 0x202
	flat_load_b64 v[32:33], v[28:29] offset:56
	s_wait_loadcnt_dscnt 0x0
	flat_load_b64 v[50:51], v[32:33] scope:SCOPE_SYS
	s_clause 0x1
	flat_load_b32 v8, v[28:29] offset:72
	flat_load_b64 v[36:37], v[28:29] offset:16
	s_wait_loadcnt_dscnt 0x101
	v_ashrrev_i32_e32 v34, 2, v8
.LBB4_40:
	s_wait_xcnt 0x0
	s_or_b32 exec_lo, exec_lo, s1
.LBB4_41:
	s_delay_alu instid0(SALU_CYCLE_1)
	s_or_b32 exec_lo, exec_lo, s0
	v_cmp_eq_u32_e64 s0, 0, v0
	s_and_saveexec_b32 s1, s0
	s_cbranch_execz .LBB4_43
; %bb.42:
	flat_load_b64 v[8:9], v[2:3] offset:32
	ds_store_2addr_b64 v0, v[12:13], v[10:11] offset1:1
	s_trap 2
	s_wait_loadcnt_dscnt 0x1
	ds_store_b64 v0, v[8:9]
	ds_store_b64 v0, v[16:17]
.LBB4_43:
	s_wait_xcnt 0x0
	s_or_b32 exec_lo, exec_lo, s1
	v_mov_b64_e32 v[48:49], 0
	s_wait_loadcnt 0x0
	v_and_b32_e32 v104, 0xffff, v18
	s_mov_b32 s47, exec_lo
	v_cmpx_lt_i64_e32 0, v[4:5]
	s_cbranch_execz .LBB4_1214
; %bb.44:
	flat_load_b32 v3, v[2:3] offset:4
	s_wait_xcnt 0x0
	v_dual_mov_b32 v2, 0 :: v_dual_bitop2_b32 v8, 31, v31 bitop3:0x40
	v_and_b32_e32 v112, 0xfffff80, v14
	v_mov_b32_e32 v108, 0x90
	s_ashr_i32 s23, s22, 31
	s_delay_alu instid0(VALU_DEP_3) | instskip(SKIP_3) | instid1(VALU_DEP_3)
	v_dual_mov_b32 v113, v2 :: v_dual_ashrrev_i32 v35, 31, v34
	v_lshrrev_b32_e32 v52, 5, v1
	s_ashr_i32 s7, s6, 31
	v_dual_lshlrev_b32 v9, 2, v1 :: v_dual_mov_b32 v107, 1
	v_mul_u64_e32 v[86:87], s[22:23], v[112:113]
	s_lshr_b32 s7, s7, 29
	v_dual_mov_b32 v67, v2 :: v_dual_lshlrev_b32 v68, 9, v52
	s_add_co_i32 s13, s6, s7
	s_add_co_i32 s56, s22, s22
	s_not_b32 s12, s22
	v_and_b32_e32 v70, 0x7f80, v9
	s_ashr_i32 s14, s13, 5
	s_cmp_gt_i32 s22, 0
	v_add_nc_u32_e32 v96, 0xfffffe00, v68
	s_cselect_b32 s12, s12, -1
	s_ashr_i32 s13, s13, 31
	v_add_nc_u32_e32 v98, 0xffffff80, v70
	s_lshr_b32 s13, s13, 28
	v_dual_lshrrev_b32 v106, 5, v0 :: v_dual_bitop2_b32 v105, 31, v0 bitop3:0x40
	s_add_co_i32 s40, s12, s56
	s_add_co_i32 s14, s14, s13
	s_ashr_i32 s41, s40, 31
	s_ashr_i32 s57, s14, 4
	s_cmp_gt_i32 s22, 2
	v_ashrrev_i32_e32 v99, 31, v98
	v_mov_b32_e32 v109, 0x88
	v_cmp_eq_u32_e64 s6, 0, v8
	v_lshlrev_b32_e32 v8, 4, v105
	s_cselect_b32 s58, -1, 0
	s_add_co_i32 s13, s22, 1
	v_cmp_ge_u32_e32 vcc_lo, v0, v1
	v_mov_b64_e32 v[54:55], 0
	s_wait_dscnt 0x2
	v_cmp_eq_u64_e64 s4, 0, v[38:39]
	v_cmp_ne_u64_e64 s5, 0, v[38:39]
	v_mov_b64_e32 v[64:65], 0
	v_mov_b64_e32 v[48:49], 0
	v_add_nc_u64_e32 v[102:103], 0x80, v[98:99]
	v_cmp_eq_u32_e64 s1, 32, v1
	v_cmp_ne_u32_e64 s2, 32, v1
	v_cmp_ne_u32_e64 s3, v1, v104
	v_dual_mov_b32 v53, v2 :: v_dual_lshlrev_b32 v66, 11, v52
	v_cmp_eq_u32_e64 s7, 0, v105
	v_cmp_lt_u32_e64 s10, v105, v15
	v_dual_mov_b32 v69, v2 :: v_dual_mov_b32 v71, v2
	v_cmp_le_u32_e64 s11, v105, v15
	v_dual_mov_b32 v81, v2 :: v_dual_lshlrev_b32 v82, 10, v52
	v_dual_mov_b32 v83, v2 :: v_dual_mov_b32 v85, v2
	v_lshl_or_b32 v80, v106, 10, v8
	v_lshl_or_b32 v84, v106, 11, v8
	s_mov_b32 s25, 0
	s_mov_b64 s[26:27], 0xffffffff
	s_add_nc_u64 s[28:29], s[22:23], -1
	s_mov_b32 s63, 0
	s_trap 2
	v_ashrrev_i32_e32 v97, 31, v96
	s_delay_alu instid0(VALU_DEP_1) | instskip(SKIP_2) | instid1(VALU_DEP_1)
	v_add_nc_u64_e32 v[100:101], 0x200, v[96:97]
	s_wait_loadcnt_dscnt 0x0
	v_and_b32_e32 v3, 1, v3
	v_cmp_eq_u32_e64 s12, 1, v3
	s_xor_b32 s59, s12, -1
	s_cmp_ge_i32 s13, s22
	s_cselect_b32 s14, s22, 0
	s_add_co_i32 s60, s22, -2
	s_sub_co_i32 s44, s13, s14
	s_xor_b32 s61, vcc_lo, -1
	s_ashr_i32 s42, s23, 31
	s_sub_co_i32 s62, 0, s22
	s_ashr_i32 s45, s44, 31
	s_branch .LBB4_47
.LBB4_45:                               ;   in Loop: Header=BB4_47 Depth=1
	s_or_b32 exec_lo, exec_lo, s15
.LBB4_46:                               ;   in Loop: Header=BB4_47 Depth=1
	s_delay_alu instid0(SALU_CYCLE_1) | instskip(SKIP_1) | instid1(VALU_DEP_1)
	s_or_b32 exec_lo, exec_lo, s14
	v_add_nc_u64_e32 v[64:65], v[64:65], v[86:87]
	v_cmp_ge_i64_e32 vcc_lo, v[64:65], v[4:5]
	s_or_b32 s63, vcc_lo, s63
	s_delay_alu instid0(SALU_CYCLE_1)
	s_and_not1_b32 exec_lo, exec_lo, s63
	s_cbranch_execz .LBB4_1213
.LBB4_47:                               ; =>This Loop Header: Depth=1
                                        ;     Child Loop BB4_57 Depth 2
                                        ;       Child Loop BB4_65 Depth 3
                                        ;       Child Loop BB4_89 Depth 3
	;; [unrolled: 1-line block ×9, first 2 shown]
                                        ;     Child Loop BB4_199 Depth 2
                                        ;       Child Loop BB4_205 Depth 3
                                        ;       Child Loop BB4_229 Depth 3
	;; [unrolled: 1-line block ×3, first 2 shown]
                                        ;     Child Loop BB4_273 Depth 2
                                        ;       Child Loop BB4_276 Depth 3
                                        ;         Child Loop BB4_284 Depth 4
                                        ;         Child Loop BB4_312 Depth 4
	;; [unrolled: 1-line block ×9, first 2 shown]
                                        ;       Child Loop BB4_420 Depth 3
                                        ;         Child Loop BB4_426 Depth 4
                                        ;         Child Loop BB4_454 Depth 4
	;; [unrolled: 1-line block ×3, first 2 shown]
                                        ;     Child Loop BB4_495 Depth 2
                                        ;       Child Loop BB4_503 Depth 3
                                        ;       Child Loop BB4_531 Depth 3
	;; [unrolled: 1-line block ×5, first 2 shown]
                                        ;         Child Loop BB4_578 Depth 4
                                        ;       Child Loop BB4_592 Depth 3
                                        ;       Child Loop BB4_597 Depth 3
                                        ;         Child Loop BB4_598 Depth 4
                                        ;       Child Loop BB4_610 Depth 3
                                        ;       Child Loop BB4_615 Depth 3
	;; [unrolled: 1-line block ×6, first 2 shown]
                                        ;     Child Loop BB4_676 Depth 2
                                        ;       Child Loop BB4_682 Depth 3
                                        ;       Child Loop BB4_710 Depth 3
	;; [unrolled: 1-line block ×3, first 2 shown]
                                        ;     Child Loop BB4_751 Depth 2
                                        ;       Child Loop BB4_754 Depth 3
                                        ;         Child Loop BB4_762 Depth 4
                                        ;         Child Loop BB4_790 Depth 4
	;; [unrolled: 1-line block ×5, first 2 shown]
                                        ;           Child Loop BB4_842 Depth 5
                                        ;         Child Loop BB4_849 Depth 4
                                        ;         Child Loop BB4_854 Depth 4
                                        ;           Child Loop BB4_855 Depth 5
                                        ;         Child Loop BB4_867 Depth 4
                                        ;         Child Loop BB4_872 Depth 4
	;; [unrolled: 1-line block ×6, first 2 shown]
                                        ;       Child Loop BB4_931 Depth 3
                                        ;         Child Loop BB4_937 Depth 4
                                        ;         Child Loop BB4_965 Depth 4
	;; [unrolled: 1-line block ×3, first 2 shown]
                                        ;     Child Loop BB4_1009 Depth 2
                                        ;       Child Loop BB4_1017 Depth 3
                                        ;       Child Loop BB4_1041 Depth 3
	;; [unrolled: 1-line block ×9, first 2 shown]
                                        ;     Child Loop BB4_1147 Depth 2
                                        ;       Child Loop BB4_1153 Depth 3
                                        ;       Child Loop BB4_1177 Depth 3
	;; [unrolled: 1-line block ×3, first 2 shown]
	v_sub_nc_u64_e32 v[116:117], v[4:5], v[64:65]
	s_mov_b32 s16, exec_lo
	s_delay_alu instid0(VALU_DEP_1)
	v_cmpx_lt_i64_e64 v[116:117], v[86:87]
	s_cbranch_execz .LBB4_53
; %bb.48:                               ;   in Loop: Header=BB4_47 Depth=1
	v_add_nc_u64_e32 v[8:9], s[28:29], v[116:117]
                                        ; implicit-def: $vgpr10_vgpr11
	s_mov_b32 s13, exec_lo
	s_delay_alu instid0(VALU_DEP_1) | instskip(NEXT) | instid1(VALU_DEP_1)
	v_or_b32_e32 v3, s23, v9
	v_cmpx_ne_u64_e32 0, v[2:3]
	s_xor_b32 s17, exec_lo, s13
	s_cbranch_execz .LBB4_50
; %bb.49:                               ;   in Loop: Header=BB4_47 Depth=1
	s_mov_b32 s43, s42
	v_dual_mov_b32 v13, v2 :: v_dual_ashrrev_i32 v10, 31, v9
	s_add_nc_u64 s[14:15], s[22:23], s[42:43]
	s_delay_alu instid0(SALU_CYCLE_1) | instskip(NEXT) | instid1(VALU_DEP_1)
	s_xor_b64 s[14:15], s[14:15], s[42:43]
	v_mov_b32_e32 v11, v10
	s_cvt_f32_u32 s13, s14
	s_cvt_f32_u32 s18, s15
	s_sub_nc_u64 s[20:21], 0, s[14:15]
	s_delay_alu instid0(VALU_DEP_1) | instskip(NEXT) | instid1(SALU_CYCLE_1)
	v_add_nc_u64_e32 v[8:9], v[8:9], v[10:11]
	s_fmamk_f32 s13, s18, 0x4f800000, s13
	v_mov_b32_e32 v17, v2
	s_delay_alu instid0(SALU_CYCLE_2) | instskip(NEXT) | instid1(VALU_DEP_2)
	v_s_rcp_f32 s13, s13
	v_xor_b32_e32 v12, v8, v10
	s_delay_alu instid0(VALU_DEP_3) | instskip(NEXT) | instid1(TRANS32_DEP_1)
	v_dual_mov_b32 v21, v2 :: v_dual_bitop2_b32 v16, v9, v10 bitop3:0x14
	s_mul_f32 s13, s13, 0x5f7ffffc
	s_delay_alu instid0(SALU_CYCLE_3) | instskip(NEXT) | instid1(SALU_CYCLE_3)
	s_mul_f32 s18, s13, 0x2f800000
	s_trunc_f32 s18, s18
	s_delay_alu instid0(SALU_CYCLE_3) | instskip(SKIP_1) | instid1(SALU_CYCLE_2)
	s_fmamk_f32 s13, s18, 0xcf800000, s13
	s_cvt_u32_f32 s19, s18
	s_cvt_u32_f32 s18, s13
	s_delay_alu instid0(SALU_CYCLE_3) | instskip(NEXT) | instid1(SALU_CYCLE_1)
	s_mul_u64 s[72:73], s[20:21], s[18:19]
	s_mul_hi_u32 s75, s18, s73
	s_mul_i32 s74, s18, s73
	s_mul_hi_u32 s24, s18, s72
	s_mul_i32 s43, s19, s72
	s_add_nc_u64 s[74:75], s[24:25], s[74:75]
	s_mul_hi_u32 s13, s19, s72
	s_mul_hi_u32 s76, s19, s73
	s_add_co_u32 s24, s74, s43
	s_add_co_ci_u32 s24, s75, s13
	s_mul_i32 s72, s19, s73
	s_add_co_ci_u32 s73, s76, 0
	s_delay_alu instid0(SALU_CYCLE_1) | instskip(NEXT) | instid1(SALU_CYCLE_1)
	s_add_nc_u64 s[72:73], s[24:25], s[72:73]
	s_add_co_u32 s18, s18, s72
	s_cselect_b32 s13, -1, 0
	s_delay_alu instid0(SALU_CYCLE_1) | instskip(SKIP_1) | instid1(SALU_CYCLE_1)
	s_cmp_lg_u32 s13, 0
	s_add_co_ci_u32 s19, s19, s73
	s_mul_u64 s[20:21], s[20:21], s[18:19]
	s_delay_alu instid0(SALU_CYCLE_1)
	s_mul_hi_u32 s73, s18, s21
	s_mul_i32 s72, s18, s21
	s_mul_hi_u32 s24, s18, s20
	s_mul_i32 s43, s19, s20
	s_add_nc_u64 s[72:73], s[24:25], s[72:73]
	s_mul_hi_u32 s13, s19, s20
	s_mul_hi_u32 s74, s19, s21
	s_mul_i32 s20, s19, s21
	s_add_co_u32 s21, s72, s43
	s_add_co_ci_u32 s24, s73, s13
	s_add_co_ci_u32 s21, s74, 0
	s_delay_alu instid0(SALU_CYCLE_1) | instskip(NEXT) | instid1(SALU_CYCLE_1)
	s_add_nc_u64 s[20:21], s[24:25], s[20:21]
	s_add_co_u32 s18, s18, s20
	s_cselect_b32 s13, -1, 0
	v_mul_hi_u32 v20, v12, s18
	s_cmp_lg_u32 s13, 0
	s_add_co_ci_u32 s24, s19, s21
	s_and_b64 s[20:21], s[18:19], s[26:27]
	v_mul_u64_e32 v[14:15], s[24:25], v[12:13]
	v_mul_u64_e32 v[8:9], s[20:21], v[16:17]
	;; [unrolled: 1-line block ×3, first 2 shown]
	s_delay_alu instid0(VALU_DEP_3) | instskip(NEXT) | instid1(VALU_DEP_1)
	v_add_nc_u64_e32 v[14:15], v[20:21], v[14:15]
	v_add_co_u32 v3, vcc_lo, v14, v8
	s_delay_alu instid0(VALU_DEP_2) | instskip(NEXT) | instid1(VALU_DEP_4)
	v_add_co_ci_u32_e32 v20, vcc_lo, v15, v9, vcc_lo
	v_add_co_ci_u32_e32 v19, vcc_lo, 0, v19, vcc_lo
	s_delay_alu instid0(VALU_DEP_1) | instskip(NEXT) | instid1(VALU_DEP_1)
	v_add_nc_u64_e32 v[8:9], v[20:21], v[18:19]
	v_mul_u64_e32 v[14:15], s[14:15], v[8:9]
	s_delay_alu instid0(VALU_DEP_1) | instskip(NEXT) | instid1(VALU_DEP_2)
	v_sub_nc_u32_e32 v3, v16, v15
	v_sub_co_u32 v11, vcc_lo, v12, v14
	s_delay_alu instid0(VALU_DEP_1) | instskip(NEXT) | instid1(VALU_DEP_3)
	v_sub_co_ci_u32_e64 v16, null, v16, v15, vcc_lo
	v_subrev_co_ci_u32_e64 v3, null, s15, v3, vcc_lo
	s_delay_alu instid0(VALU_DEP_3) | instskip(SKIP_1) | instid1(VALU_DEP_3)
	v_sub_co_u32 v12, s13, v11, s14
	v_add_nc_u64_e32 v[14:15], 1, v[8:9]
	v_subrev_co_ci_u32_e64 v3, null, 0, v3, s13
	s_delay_alu instid0(VALU_DEP_3) | instskip(SKIP_1) | instid1(VALU_DEP_3)
	v_cmp_le_u32_e32 vcc_lo, s14, v12
	v_cndmask_b32_e64 v12, 0, -1, vcc_lo
	v_cmp_le_u32_e32 vcc_lo, s15, v3
	v_cndmask_b32_e64 v13, 0, -1, vcc_lo
	v_cmp_le_u32_e32 vcc_lo, s14, v11
	v_cndmask_b32_e64 v11, 0, -1, vcc_lo
	v_cmp_le_u32_e32 vcc_lo, s15, v16
	v_cndmask_b32_e64 v17, 0, -1, vcc_lo
	v_cmp_eq_u32_e32 vcc_lo, s15, v3
	v_cndmask_b32_e32 v3, v13, v12, vcc_lo
	v_cmp_eq_u32_e32 vcc_lo, s15, v16
	v_add_nc_u64_e32 v[12:13], 2, v[8:9]
	v_cndmask_b32_e32 v11, v17, v11, vcc_lo
	s_delay_alu instid0(VALU_DEP_4) | instskip(NEXT) | instid1(VALU_DEP_3)
	v_cmp_ne_u32_e32 vcc_lo, 0, v3
	v_cndmask_b32_e32 v3, v15, v13, vcc_lo
	s_delay_alu instid0(VALU_DEP_3) | instskip(SKIP_1) | instid1(VALU_DEP_2)
	v_cmp_ne_u32_e64 s13, 0, v11
	v_dual_cndmask_b32 v11, v14, v12, vcc_lo :: v_dual_bitop2_b32 v10, s42, v10 bitop3:0x14
	v_cndmask_b32_e64 v3, v9, v3, s13
	s_delay_alu instid0(VALU_DEP_2) | instskip(NEXT) | instid1(VALU_DEP_2)
	v_dual_cndmask_b32 v8, v8, v11, s13 :: v_dual_mov_b32 v11, v10
	v_xor_b32_e32 v9, v3, v10
	s_delay_alu instid0(VALU_DEP_2) | instskip(NEXT) | instid1(VALU_DEP_1)
	v_xor_b32_e32 v8, v8, v10
	v_sub_nc_u64_e32 v[10:11], v[8:9], v[10:11]
                                        ; implicit-def: $vgpr8_vgpr9
.LBB4_50:                               ;   in Loop: Header=BB4_47 Depth=1
	s_and_not1_saveexec_b32 s13, s17
	s_cbranch_execz .LBB4_52
; %bb.51:                               ;   in Loop: Header=BB4_47 Depth=1
	v_cvt_f32_u32_e32 v3, s22
	v_mov_b32_e32 v11, v2
	s_delay_alu instid0(VALU_DEP_2) | instskip(SKIP_1) | instid1(TRANS32_DEP_1)
	v_rcp_iflag_f32_e32 v3, v3
	v_nop
	v_mul_f32_e32 v3, 0x4f7ffffe, v3
	s_delay_alu instid0(VALU_DEP_1) | instskip(NEXT) | instid1(VALU_DEP_1)
	v_cvt_u32_f32_e32 v3, v3
	v_mul_lo_u32 v9, s62, v3
	s_delay_alu instid0(VALU_DEP_1) | instskip(NEXT) | instid1(VALU_DEP_1)
	v_mul_hi_u32 v9, v3, v9
	v_add_nc_u32_e32 v3, v3, v9
	s_delay_alu instid0(VALU_DEP_1) | instskip(NEXT) | instid1(VALU_DEP_1)
	v_mul_hi_u32 v3, v8, v3
	v_mul_lo_u32 v9, v3, s22
	s_delay_alu instid0(VALU_DEP_1) | instskip(NEXT) | instid1(VALU_DEP_1)
	v_dual_sub_nc_u32 v8, v8, v9 :: v_dual_add_nc_u32 v9, 1, v3
	v_subrev_nc_u32_e32 v10, s22, v8
	v_cmp_le_u32_e32 vcc_lo, s22, v8
	s_delay_alu instid0(VALU_DEP_2) | instskip(NEXT) | instid1(VALU_DEP_1)
	v_dual_cndmask_b32 v8, v8, v10 :: v_dual_cndmask_b32 v3, v3, v9
	v_cmp_le_u32_e32 vcc_lo, s22, v8
	s_delay_alu instid0(VALU_DEP_2) | instskip(NEXT) | instid1(VALU_DEP_1)
	v_add_nc_u32_e32 v9, 1, v3
	v_cndmask_b32_e32 v10, v3, v9, vcc_lo
.LBB4_52:                               ;   in Loop: Header=BB4_47 Depth=1
	s_or_b32 exec_lo, exec_lo, s13
	s_delay_alu instid0(VALU_DEP_1) | instskip(NEXT) | instid1(VALU_DEP_1)
	v_add_nc_u64_e32 v[112:113], 3, v[10:11]
	v_and_b32_e32 v112, -4, v112
.LBB4_53:                               ;   in Loop: Header=BB4_47 Depth=1
	s_or_b32 exec_lo, exec_lo, s16
	s_delay_alu instid0(VALU_DEP_1) | instskip(SKIP_1) | instid1(VALU_DEP_2)
	v_mul_u64_e32 v[12:13], s[40:41], v[112:113]
	v_add_nc_u64_e32 v[118:119], v[64:65], v[24:25]
	v_sub_nc_u64_e32 v[8:9], v[116:117], v[12:13]
	s_delay_alu instid0(VALU_DEP_1) | instskip(NEXT) | instid1(VALU_DEP_1)
	v_min_i64 v[8:9], v[112:113], v[8:9]
	v_max_i32_e32 v3, 0, v8
	v_cmp_lt_i32_e32 vcc_lo, 0, v8
	s_delay_alu instid0(VALU_DEP_2) | instskip(SKIP_1) | instid1(VALU_DEP_1)
	v_add_nc_u32_e32 v9, 31, v3
	s_and_b32 s13, s61, vcc_lo
	v_lshrrev_b32_e32 v9, 1, v9
	s_delay_alu instid0(VALU_DEP_1) | instskip(NEXT) | instid1(VALU_DEP_1)
	v_and_b32_e32 v10, 0x3ffffff0, v9
	v_dual_mov_b32 v9, 0 :: v_dual_max_i32 v8, s57, v10
	v_mov_b32_e32 v10, 0
	s_and_saveexec_b32 s14, s13
	s_cbranch_execz .LBB4_195
; %bb.54:                               ;   in Loop: Header=BB4_47 Depth=1
	v_mov_b32_e32 v10, 0
	s_mov_b32 s17, 1
	s_mov_b32 s16, -1
	s_mov_b32 s15, 0
	s_branch .LBB4_57
.LBB4_55:                               ;   in Loop: Header=BB4_57 Depth=2
	s_wait_xcnt 0x0
	s_or_b32 exec_lo, exec_lo, s18
	v_add_nc_u64_e32 v[114:115], 2, v[114:115]
	global_wb scope:SCOPE_SYS
	s_wait_storecnt 0x0
	s_wait_loadcnt_dscnt 0x0
	flat_store_b64 v[32:33], v[114:115] scope:SCOPE_SYS
.LBB4_56:                               ;   in Loop: Header=BB4_57 Depth=2
	s_wait_xcnt 0x0
	s_or_b32 exec_lo, exec_lo, s13
	v_dual_mov_b32 v9, s17 :: v_dual_add_nc_u32 v10, v8, v10
	s_xor_b32 s13, s16, -1
	s_mov_b32 s16, 0
	s_mov_b32 s17, 2
	s_delay_alu instid0(VALU_DEP_1) | instskip(SKIP_1) | instid1(SALU_CYCLE_1)
	v_cmp_ge_i32_e32 vcc_lo, v10, v3
	s_or_b32 s13, s13, vcc_lo
	s_and_b32 s13, exec_lo, s13
	s_delay_alu instid0(SALU_CYCLE_1) | instskip(NEXT) | instid1(SALU_CYCLE_1)
	s_or_b32 s15, s13, s15
	s_and_not1_b32 exec_lo, exec_lo, s15
	s_cbranch_execz .LBB4_194
.LBB4_57:                               ;   Parent Loop BB4_47 Depth=1
                                        ; =>  This Loop Header: Depth=2
                                        ;       Child Loop BB4_65 Depth 3
                                        ;       Child Loop BB4_89 Depth 3
	;; [unrolled: 1-line block ×9, first 2 shown]
	s_and_saveexec_b32 s13, s0
	s_cbranch_execz .LBB4_59
; %bb.58:                               ;   in Loop: Header=BB4_57 Depth=2
	s_trap 2
	ds_load_b64 v[14:15], v0
	v_ashrrev_i32_e32 v11, 31, v10
	s_wait_dscnt 0x0
	v_lshl_add_u64 v[14:15], v[118:119], 2, v[14:15]
	s_delay_alu instid0(VALU_DEP_1) | instskip(NEXT) | instid1(VALU_DEP_1)
	v_lshl_add_u64 v[14:15], v[12:13], 2, v[14:15]
	v_lshl_add_u64 v[14:15], v[10:11], 2, v[14:15]
	ds_store_b64 v0, v[14:15]
	ds_store_b64 v0, v[54:55]
.LBB4_59:                               ;   in Loop: Header=BB4_57 Depth=2
	s_or_b32 exec_lo, exec_lo, s13
	v_sub_nc_u32_e32 v9, v3, v10
	v_and_b32_e32 v11, 8, v30
	s_mov_b32 s18, exec_lo
	s_delay_alu instid0(VALU_DEP_2) | instskip(NEXT) | instid1(VALU_DEP_2)
	v_min_i32_e32 v8, v8, v9
	v_cmpx_ne_u32_e32 0, v11
	s_cbranch_execz .LBB4_81
; %bb.60:                               ;   in Loop: Header=BB4_57 Depth=2
	s_wait_loadcnt_dscnt 0x1
	v_add_nc_u64_e32 v[16:17], 8, v[50:51]
	v_add_nc_u64_e32 v[14:15], 2, v[114:115]
	s_mov_b32 s19, exec_lo
	s_delay_alu instid0(VALU_DEP_1)
	v_cmpx_lt_u64_e64 v[16:17], v[14:15]
	s_cbranch_execz .LBB4_72
; %bb.61:                               ;   in Loop: Header=BB4_57 Depth=2
	v_and_b32_e32 v9, 64, v30
	s_mov_b32 s20, 0
	s_mov_b32 s72, 0
                                        ; implicit-def: $sgpr21
                                        ; implicit-def: $sgpr24
                                        ; implicit-def: $sgpr43
	s_delay_alu instid0(VALU_DEP_1)
	v_cmp_eq_u32_e32 vcc_lo, 0, v9
	s_branch .LBB4_65
.LBB4_62:                               ;   in Loop: Header=BB4_65 Depth=3
	s_wait_loadcnt_dscnt 0x0
	v_add_nc_u64_e32 v[16:17], 8, v[50:51]
	s_or_b32 s75, s75, exec_lo
	s_delay_alu instid0(VALU_DEP_1)
	v_cmp_ge_u64_e64 s13, v[16:17], v[14:15]
	s_or_not1_b32 s74, s13, exec_lo
.LBB4_63:                               ;   in Loop: Header=BB4_65 Depth=3
	s_or_b32 exec_lo, exec_lo, s77
	s_delay_alu instid0(SALU_CYCLE_1)
	s_and_not1_b32 s13, s43, exec_lo
	s_and_b32 s43, s75, exec_lo
	s_and_not1_b32 s24, s24, exec_lo
	s_and_b32 s74, s74, exec_lo
	s_or_b32 s43, s13, s43
	s_or_b32 s24, s24, s74
.LBB4_64:                               ;   in Loop: Header=BB4_65 Depth=3
	s_or_b32 exec_lo, exec_lo, s73
	s_delay_alu instid0(SALU_CYCLE_1) | instskip(NEXT) | instid1(SALU_CYCLE_1)
	s_and_b32 s13, exec_lo, s24
	s_or_b32 s20, s13, s20
	s_and_not1_b32 s13, s21, exec_lo
	s_and_b32 s21, s43, exec_lo
	s_delay_alu instid0(SALU_CYCLE_1)
	s_or_b32 s21, s13, s21
	s_and_not1_b32 exec_lo, exec_lo, s20
	s_cbranch_execz .LBB4_69
.LBB4_65:                               ;   Parent Loop BB4_47 Depth=1
                                        ;     Parent Loop BB4_57 Depth=2
                                        ; =>    This Inner Loop Header: Depth=3
	s_sleep 1
	s_wait_loadcnt_dscnt 0x0
	flat_load_b64 v[50:51], v[32:33] scope:SCOPE_SYS
	s_or_b32 s43, s43, exec_lo
	s_or_b32 s24, s24, exec_lo
                                        ; implicit-def: $vgpr9
	s_wait_xcnt 0x0
	s_and_saveexec_b32 s73, vcc_lo
	s_cbranch_execz .LBB4_64
; %bb.66:                               ;   in Loop: Header=BB4_65 Depth=3
	s_cmp_lt_i32 s72, 0x270f
	s_mov_b32 s74, -1
	s_cselect_b32 s76, -1, 0
	s_cmp_gt_i32 s72, 0x270e
	s_cbranch_scc0 .LBB4_68
; %bb.67:                               ;   in Loop: Header=BB4_65 Depth=3
	s_trap 2
	ds_load_b64 v[16:17], v0
	s_and_not1_b32 s72, s76, exec_lo
	s_mov_b32 s75, 0
	s_wait_storecnt 0x0
	s_wait_loadcnt_dscnt 0x0
	flat_load_b32 v9, v[16:17] scope:SCOPE_SYS
	s_wait_loadcnt_dscnt 0x0
	global_inv scope:SCOPE_SYS
	v_cmp_eq_u32_e64 s13, 0, v9
	s_and_b32 s13, s13, exec_lo
	s_delay_alu instid0(SALU_CYCLE_1)
	s_or_b32 s76, s72, s13
	s_mov_b32 s72, 0
	s_and_saveexec_b32 s77, s76
	s_cbranch_execz .LBB4_63
	s_branch .LBB4_62
.LBB4_68:                               ;   in Loop: Header=BB4_65 Depth=3
	s_add_co_i32 s72, s72, 1
	s_mov_b32 s75, -1
                                        ; implicit-def: $vgpr9
	s_and_saveexec_b32 s77, s76
	s_cbranch_execz .LBB4_63
	s_branch .LBB4_62
.LBB4_69:                               ;   in Loop: Header=BB4_57 Depth=2
	s_or_b32 exec_lo, exec_lo, s20
	s_xor_b32 s13, s21, -1
	s_delay_alu instid0(SALU_CYCLE_1) | instskip(NEXT) | instid1(SALU_CYCLE_1)
	s_and_saveexec_b32 s20, s13
	s_xor_b32 s13, exec_lo, s20
	s_cbranch_execz .LBB4_71
; %bb.70:                               ;   in Loop: Header=BB4_57 Depth=2
	v_or_b32_e32 v30, 64, v30
	s_wait_storecnt 0x0
	s_wait_loadcnt_dscnt 0x0
	ds_store_b32 v0, v9
	s_trap 2
.LBB4_71:                               ;   in Loop: Header=BB4_57 Depth=2
	s_or_b32 exec_lo, exec_lo, s13
.LBB4_72:                               ;   in Loop: Header=BB4_57 Depth=2
	s_delay_alu instid0(SALU_CYCLE_1) | instskip(SKIP_4) | instid1(VALU_DEP_1)
	s_or_b32 exec_lo, exec_lo, s19
	v_and_b32_e32 v9, 0x100, v30
	s_mov_b32 s19, 0
	s_mov_b32 s13, exec_lo
	;;#ASMSTART
	s_wakeup
	;;#ASMEND
                                        ; implicit-def: $vgpr16_vgpr17
                                        ; implicit-def: $vgpr18_vgpr19
	v_cmpx_ne_u32_e32 0, v9
	s_xor_b32 s13, exec_lo, s13
	s_cbranch_execz .LBB4_93
; %bb.73:                               ;   in Loop: Header=BB4_57 Depth=2
	v_dual_ashrrev_i32 v9, 31, v8 :: v_dual_bitop2_b32 v16, 7, v114 bitop3:0x40
	s_mov_b32 s19, -1
	s_mov_b32 s20, exec_lo
	s_delay_alu instid0(VALU_DEP_1) | instskip(NEXT) | instid1(VALU_DEP_2)
	v_mad_nc_u64_u32 v[20:21], v16, 24, v[6:7]
	v_lshlrev_b64_e32 v[18:19], 2, v[8:9]
	s_clause 0x1
	flat_load_b32 v11, v[20:21]
	flat_store_b64 v[20:21], v[18:19] offset:8
                                        ; implicit-def: $vgpr18_vgpr19
	s_wait_loadcnt_dscnt 0x1
	v_cmpx_eq_u32_e32 1, v11
	s_cbranch_execz .LBB4_75
; %bb.74:                               ;   in Loop: Header=BB4_57 Depth=2
	flat_load_b32 v18, v[20:21] offset:4 scope:SCOPE_SYS
	s_xor_b32 s19, exec_lo, -1
	s_wait_loadcnt_dscnt 0x0
	v_ashrrev_i32_e32 v19, 31, v18
	s_delay_alu instid0(VALU_DEP_1)
	v_lshrrev_b64 v[18:19], 2, v[18:19]
.LBB4_75:                               ;   in Loop: Header=BB4_57 Depth=2
	s_wait_xcnt 0x0
	s_or_b32 exec_lo, exec_lo, s20
	v_mov_b32_e32 v17, v2
	s_and_b32 s19, s19, exec_lo
                                        ; implicit-def: $vgpr114_vgpr115
	s_and_not1_saveexec_b32 s13, s13
	s_cbranch_execnz .LBB4_94
.LBB4_76:                               ;   in Loop: Header=BB4_57 Depth=2
	s_or_b32 exec_lo, exec_lo, s13
	s_and_saveexec_b32 s13, s19
.LBB4_77:                               ;   in Loop: Header=BB4_57 Depth=2
	v_mul_u64_e32 v[18:19], v[16:17], v[34:35]
.LBB4_78:                               ;   in Loop: Header=BB4_57 Depth=2
	s_or_b32 exec_lo, exec_lo, s13
	v_and_b32_e32 v9, 0x2000, v30
	s_delay_alu instid0(VALU_DEP_2)
	v_lshl_add_u64 v[16:17], v[18:19], 2, v[36:37]
	s_mov_b32 s13, exec_lo
	ds_store_b64 v0, v[16:17] offset:784
	v_cmpx_ne_u32_e32 0, v9
	s_cbranch_execz .LBB4_80
; %bb.79:                               ;   in Loop: Header=BB4_57 Depth=2
	ds_load_b64 v[16:17], v0 offset:872
	s_wait_dscnt 0x0
	v_add_nc_u64_e32 v[16:17], 1, v[16:17]
	ds_store_b64 v0, v[16:17] offset:872
.LBB4_80:                               ;   in Loop: Header=BB4_57 Depth=2
	s_or_b32 exec_lo, exec_lo, s13
	v_mov_b64_e32 v[114:115], v[14:15]
.LBB4_81:                               ;   in Loop: Header=BB4_57 Depth=2
	s_or_b32 exec_lo, exec_lo, s18
	s_and_saveexec_b32 s13, s2
	s_cbranch_execz .LBB4_102
; %bb.82:                               ;   in Loop: Header=BB4_57 Depth=2
	s_and_saveexec_b32 s18, s3
	s_delay_alu instid0(SALU_CYCLE_1)
	s_xor_b32 s18, exec_lo, s18
	s_cbranch_execz .LBB4_99
; %bb.83:                               ;   in Loop: Header=BB4_57 Depth=2
	s_and_saveexec_b32 s19, s6
	s_cbranch_execz .LBB4_98
; %bb.84:                               ;   in Loop: Header=BB4_57 Depth=2
	s_mov_b32 s21, exec_lo
	s_mov_b32 s20, exec_lo
	v_mbcnt_lo_u32_b32 v9, s21, 0
	global_wb scope:SCOPE_DEV
	s_wait_storecnt 0x0
	s_wait_loadcnt_dscnt 0x0
	global_inv scope:SCOPE_DEV
	v_cmpx_eq_u32_e32 0, v9
	s_cbranch_execz .LBB4_86
; %bb.85:                               ;   in Loop: Header=BB4_57 Depth=2
	s_bcnt1_i32_b32 s21, s21
	s_delay_alu instid0(SALU_CYCLE_1)
	v_dual_mov_b32 v15, v2 :: v_dual_mov_b32 v14, s21
	s_wait_loadcnt 0x0
	ds_add_u64 v0, v[14:15]
	s_trap 2
.LBB4_86:                               ;   in Loop: Header=BB4_57 Depth=2
	s_or_b32 exec_lo, exec_lo, s20
	s_trap 2
	ds_load_b64 v[14:15], v0
	s_wait_dscnt 0x0
	v_add_nc_u64_e32 v[48:49], v[48:49], v[52:53]
	s_mov_b32 s20, exec_lo
	s_delay_alu instid0(VALU_DEP_1)
	v_cmpx_lt_u64_e64 v[14:15], v[48:49]
	s_cbranch_execz .LBB4_97
; %bb.87:                               ;   in Loop: Header=BB4_57 Depth=2
	s_mov_b32 s21, 0
	s_mov_b32 s72, 0
                                        ; implicit-def: $sgpr24
                                        ; implicit-def: $sgpr43
	s_branch .LBB4_89
.LBB4_88:                               ;   in Loop: Header=BB4_89 Depth=3
	s_or_b32 exec_lo, exec_lo, s74
	s_delay_alu instid0(SALU_CYCLE_1) | instskip(NEXT) | instid1(SALU_CYCLE_1)
	s_and_b32 s73, exec_lo, s75
	s_or_b32 s21, s73, s21
	s_and_not1_b32 s24, s24, exec_lo
	s_and_b32 s73, s43, exec_lo
	s_delay_alu instid0(SALU_CYCLE_1)
	s_or_b32 s24, s24, s73
	s_and_not1_b32 exec_lo, exec_lo, s21
	s_cbranch_execz .LBB4_95
.LBB4_89:                               ;   Parent Loop BB4_47 Depth=1
                                        ;     Parent Loop BB4_57 Depth=2
                                        ; =>    This Inner Loop Header: Depth=3
	s_add_co_i32 s72, s72, 1
	s_delay_alu instid0(SALU_CYCLE_1) | instskip(SKIP_1) | instid1(SALU_CYCLE_1)
	s_cmp_lg_u32 s72, 0x2710
	s_cselect_b32 s73, -1, 0
	s_and_b32 vcc_lo, exec_lo, s73
	s_cbranch_vccz .LBB4_91
; %bb.90:                               ;   in Loop: Header=BB4_89 Depth=3
	s_mov_b32 s75, -1
	s_or_b32 s43, s43, exec_lo
	s_and_saveexec_b32 s74, s73
	s_cbranch_execz .LBB4_88
	s_branch .LBB4_92
.LBB4_91:                               ;   in Loop: Header=BB4_89 Depth=3
	s_trap 2
	ds_load_b64 v[14:15], v0
	s_and_not1_b32 s73, s73, exec_lo
	s_mov_b32 s72, 0
	s_wait_loadcnt_dscnt 0x0
	flat_load_b32 v9, v[14:15] scope:SCOPE_SYS
	s_wait_loadcnt_dscnt 0x0
	global_inv scope:SCOPE_SYS
	v_cmp_eq_u32_e32 vcc_lo, 0, v9
	s_and_b32 s74, vcc_lo, exec_lo
	s_delay_alu instid0(SALU_CYCLE_1)
	s_or_b32 s73, s73, s74
	s_mov_b32 s75, -1
	s_or_b32 s43, s43, exec_lo
	s_and_saveexec_b32 s74, s73
	s_cbranch_execz .LBB4_88
.LBB4_92:                               ;   in Loop: Header=BB4_89 Depth=3
	s_sleep 1
	s_trap 2
	ds_load_b64 v[14:15], v0
	s_wait_dscnt 0x0
	s_and_not1_b32 s43, s43, exec_lo
	v_cmp_ge_u64_e32 vcc_lo, v[14:15], v[48:49]
	s_or_not1_b32 s75, vcc_lo, exec_lo
	s_branch .LBB4_88
.LBB4_93:                               ;   in Loop: Header=BB4_57 Depth=2
	s_and_not1_saveexec_b32 s13, s13
	s_cbranch_execz .LBB4_76
.LBB4_94:                               ;   in Loop: Header=BB4_57 Depth=2
	v_dual_mov_b32 v17, v2 :: v_dual_bitop2_b32 v16, 7, v114 bitop3:0x40
	s_or_b32 s19, s19, exec_lo
	s_or_b32 exec_lo, exec_lo, s13
	s_and_saveexec_b32 s13, s19
	s_cbranch_execnz .LBB4_77
	s_branch .LBB4_78
.LBB4_95:                               ;   in Loop: Header=BB4_57 Depth=2
	s_or_b32 exec_lo, exec_lo, s21
	s_and_saveexec_b32 s21, s24
	s_delay_alu instid0(SALU_CYCLE_1)
	s_xor_b32 s21, exec_lo, s21
	s_cbranch_execz .LBB4_97
; %bb.96:                               ;   in Loop: Header=BB4_57 Depth=2
	ds_store_b32 v0, v107
	s_trap 2
.LBB4_97:                               ;   in Loop: Header=BB4_57 Depth=2
	s_or_b32 exec_lo, exec_lo, s20
	;;#ASMSTART
	s_wakeup
	;;#ASMEND
.LBB4_98:                               ;   in Loop: Header=BB4_57 Depth=2
	s_or_b32 exec_lo, exec_lo, s19
.LBB4_99:                               ;   in Loop: Header=BB4_57 Depth=2
	s_and_not1_saveexec_b32 s18, s18
	s_cbranch_execz .LBB4_101
; %bb.100:                              ;   in Loop: Header=BB4_57 Depth=2
	global_wb scope:SCOPE_DEV
	s_wait_storecnt 0x0
	s_wait_loadcnt_dscnt 0x0
	global_inv scope:SCOPE_DEV
	s_barrier_signal -1
	s_barrier_wait -1
.LBB4_101:                              ;   in Loop: Header=BB4_57 Depth=2
	s_or_b32 exec_lo, exec_lo, s18
.LBB4_102:                              ;   in Loop: Header=BB4_57 Depth=2
	s_delay_alu instid0(SALU_CYCLE_1) | instskip(SKIP_4) | instid1(VALU_DEP_1)
	s_or_b32 exec_lo, exec_lo, s13
	s_trap 2
	ds_load_b32 v9, v0
	v_and_b32_e32 v11, 0x4000, v30
	s_xor_b32 s13, s1, -1
	v_cmp_ne_u32_e32 vcc_lo, 0, v11
	s_and_b32 s18, s13, vcc_lo
	s_delay_alu instid0(SALU_CYCLE_1)
	s_and_saveexec_b32 s13, s18
	s_cbranch_execz .LBB4_121
; %bb.103:                              ;   in Loop: Header=BB4_57 Depth=2
	s_and_saveexec_b32 s18, s3
	s_delay_alu instid0(SALU_CYCLE_1)
	s_xor_b32 s18, exec_lo, s18
	s_cbranch_execz .LBB4_118
; %bb.104:                              ;   in Loop: Header=BB4_57 Depth=2
	s_and_saveexec_b32 s19, s6
	s_cbranch_execz .LBB4_117
; %bb.105:                              ;   in Loop: Header=BB4_57 Depth=2
	s_mov_b32 s21, exec_lo
	s_mov_b32 s20, exec_lo
	v_mbcnt_lo_u32_b32 v11, s21, 0
	global_wb scope:SCOPE_DEV
	s_wait_storecnt 0x0
	s_wait_loadcnt_dscnt 0x0
	global_inv scope:SCOPE_DEV
	v_cmpx_eq_u32_e32 0, v11
	s_cbranch_execz .LBB4_107
; %bb.106:                              ;   in Loop: Header=BB4_57 Depth=2
	s_bcnt1_i32_b32 s21, s21
	s_delay_alu instid0(SALU_CYCLE_1)
	v_dual_mov_b32 v15, v2 :: v_dual_mov_b32 v14, s21
	s_wait_loadcnt 0x0
	ds_add_u64 v0, v[14:15]
	s_trap 2
.LBB4_107:                              ;   in Loop: Header=BB4_57 Depth=2
	s_or_b32 exec_lo, exec_lo, s20
	s_trap 2
	ds_load_b64 v[14:15], v0
	s_wait_dscnt 0x0
	v_add_nc_u64_e32 v[48:49], v[48:49], v[52:53]
	s_mov_b32 s20, exec_lo
	s_delay_alu instid0(VALU_DEP_1)
	v_cmpx_lt_u64_e64 v[14:15], v[48:49]
	s_cbranch_execz .LBB4_116
; %bb.108:                              ;   in Loop: Header=BB4_57 Depth=2
	s_mov_b32 s21, 0
	s_mov_b32 s72, 0
                                        ; implicit-def: $sgpr24
                                        ; implicit-def: $sgpr43
	s_branch .LBB4_110
.LBB4_109:                              ;   in Loop: Header=BB4_110 Depth=3
	s_or_b32 exec_lo, exec_lo, s74
	s_delay_alu instid0(SALU_CYCLE_1) | instskip(NEXT) | instid1(SALU_CYCLE_1)
	s_and_b32 s73, exec_lo, s75
	s_or_b32 s21, s73, s21
	s_and_not1_b32 s24, s24, exec_lo
	s_and_b32 s73, s43, exec_lo
	s_delay_alu instid0(SALU_CYCLE_1)
	s_or_b32 s24, s24, s73
	s_and_not1_b32 exec_lo, exec_lo, s21
	s_cbranch_execz .LBB4_114
.LBB4_110:                              ;   Parent Loop BB4_47 Depth=1
                                        ;     Parent Loop BB4_57 Depth=2
                                        ; =>    This Inner Loop Header: Depth=3
	s_add_co_i32 s72, s72, 1
	s_delay_alu instid0(SALU_CYCLE_1) | instskip(SKIP_1) | instid1(SALU_CYCLE_1)
	s_cmp_lg_u32 s72, 0x2710
	s_cselect_b32 s73, -1, 0
	s_and_b32 vcc_lo, exec_lo, s73
	s_cbranch_vccz .LBB4_112
; %bb.111:                              ;   in Loop: Header=BB4_110 Depth=3
	s_mov_b32 s75, -1
	s_or_b32 s43, s43, exec_lo
	s_and_saveexec_b32 s74, s73
	s_cbranch_execz .LBB4_109
	s_branch .LBB4_113
.LBB4_112:                              ;   in Loop: Header=BB4_110 Depth=3
	s_trap 2
	ds_load_b64 v[14:15], v0
	s_and_not1_b32 s73, s73, exec_lo
	s_mov_b32 s72, 0
	s_wait_loadcnt_dscnt 0x0
	flat_load_b32 v11, v[14:15] scope:SCOPE_SYS
	s_wait_loadcnt_dscnt 0x0
	global_inv scope:SCOPE_SYS
	v_cmp_eq_u32_e32 vcc_lo, 0, v11
	s_and_b32 s74, vcc_lo, exec_lo
	s_delay_alu instid0(SALU_CYCLE_1)
	s_or_b32 s73, s73, s74
	s_mov_b32 s75, -1
	s_or_b32 s43, s43, exec_lo
	s_and_saveexec_b32 s74, s73
	s_cbranch_execz .LBB4_109
.LBB4_113:                              ;   in Loop: Header=BB4_110 Depth=3
	s_sleep 1
	s_trap 2
	ds_load_b64 v[14:15], v0
	s_wait_dscnt 0x0
	s_and_not1_b32 s43, s43, exec_lo
	v_cmp_ge_u64_e32 vcc_lo, v[14:15], v[48:49]
	s_or_not1_b32 s75, vcc_lo, exec_lo
	s_branch .LBB4_109
.LBB4_114:                              ;   in Loop: Header=BB4_57 Depth=2
	s_or_b32 exec_lo, exec_lo, s21
	s_and_saveexec_b32 s21, s24
	s_delay_alu instid0(SALU_CYCLE_1)
	s_xor_b32 s21, exec_lo, s21
	s_cbranch_execz .LBB4_116
; %bb.115:                              ;   in Loop: Header=BB4_57 Depth=2
	ds_store_b32 v0, v107
	s_trap 2
.LBB4_116:                              ;   in Loop: Header=BB4_57 Depth=2
	s_or_b32 exec_lo, exec_lo, s20
	;;#ASMSTART
	s_wakeup
	;;#ASMEND
.LBB4_117:                              ;   in Loop: Header=BB4_57 Depth=2
	s_or_b32 exec_lo, exec_lo, s19
.LBB4_118:                              ;   in Loop: Header=BB4_57 Depth=2
	s_and_not1_saveexec_b32 s18, s18
	s_cbranch_execz .LBB4_120
; %bb.119:                              ;   in Loop: Header=BB4_57 Depth=2
	global_wb scope:SCOPE_DEV
	s_wait_storecnt 0x0
	s_wait_loadcnt_dscnt 0x0
	global_inv scope:SCOPE_DEV
	s_barrier_signal -1
	s_barrier_wait -1
.LBB4_120:                              ;   in Loop: Header=BB4_57 Depth=2
	s_or_b32 exec_lo, exec_lo, s18
.LBB4_121:                              ;   in Loop: Header=BB4_57 Depth=2
	s_delay_alu instid0(SALU_CYCLE_1)
	s_or_b32 exec_lo, exec_lo, s13
	s_trap 2
	ds_load_b64 v[14:15], v0
	s_wait_dscnt 0x0
	v_cmp_eq_u64_e32 vcc_lo, 0, v[14:15]
	s_cbranch_vccnz .LBB4_129
; %bb.122:                              ;   in Loop: Header=BB4_57 Depth=2
	s_trap 2
	ds_load_b64 v[16:17], v0
	s_wait_dscnt 0x0
	v_cmp_eq_u64_e32 vcc_lo, 0, v[16:17]
	s_cbranch_vccnz .LBB4_129
; %bb.123:                              ;   in Loop: Header=BB4_57 Depth=2
	s_mov_b32 s13, -1
	s_and_saveexec_b32 s18, s7
	s_cbranch_execz .LBB4_125
; %bb.124:                              ;   in Loop: Header=BB4_57 Depth=2
	ds_load_b32 v11, v0 offset:720
	s_wait_dscnt 0x0
	v_and_b32_e32 v11, 15, v11
	s_delay_alu instid0(VALU_DEP_1)
	v_cmp_eq_u32_e32 vcc_lo, 0, v11
	s_or_not1_b32 s13, vcc_lo, exec_lo
.LBB4_125:                              ;   in Loop: Header=BB4_57 Depth=2
	s_or_b32 exec_lo, exec_lo, s18
	s_and_saveexec_b32 s18, s10
	s_cbranch_execz .LBB4_127
; %bb.126:                              ;   in Loop: Header=BB4_57 Depth=2
	ds_load_b32 v11, v0 offset:784
	s_wait_dscnt 0x0
	v_and_b32_e32 v11, 15, v11
	s_delay_alu instid0(VALU_DEP_1) | instskip(SKIP_3) | instid1(SALU_CYCLE_1)
	v_cmp_eq_u32_e32 vcc_lo, 0, v11
	s_and_b32 s19, s13, vcc_lo
	s_and_not1_b32 s13, s13, exec_lo
	s_and_b32 s19, s19, exec_lo
	s_or_b32 s13, s13, s19
.LBB4_127:                              ;   in Loop: Header=BB4_57 Depth=2
	s_or_b32 exec_lo, exec_lo, s18
	v_cmp_eq_u32_e32 vcc_lo, 0, v9
	s_xor_b32 s13, s13, -1
	s_mov_b32 s19, -1
	v_cndmask_b32_e64 v11, 0, 1, s13
	v_dual_mov_b32 v40, 0 :: v_dual_cndmask_b32 v9, 0, v8
	s_delay_alu instid0(VALU_DEP_2) | instskip(NEXT) | instid1(VALU_DEP_2)
	v_cmp_ne_u32_e32 vcc_lo, 0, v11
	v_lshlrev_b32_e32 v11, 2, v9
	s_cbranch_vccz .LBB4_134
; %bb.128:                              ;   in Loop: Header=BB4_57 Depth=2
	v_mov_b32_e32 v41, v0
	s_and_saveexec_b32 s13, s19
	s_cbranch_execnz .LBB4_145
	s_branch .LBB4_153
.LBB4_129:                              ;   in Loop: Header=BB4_57 Depth=2
	s_mov_b32 s13, 0
	s_and_saveexec_b32 s18, s2
	s_cbranch_execnz .LBB4_154
.LBB4_130:                              ;   in Loop: Header=BB4_57 Depth=2
	s_or_b32 exec_lo, exec_lo, s18
                                        ; implicit-def: $vgpr9
	s_and_saveexec_b32 s18, s12
	s_delay_alu instid0(SALU_CYCLE_1)
	s_xor_b32 s18, exec_lo, s18
	s_cbranch_execz .LBB4_172
.LBB4_131:                              ;   in Loop: Header=BB4_57 Depth=2
	v_and_b32_e32 v9, 16, v30
	s_delay_alu instid0(VALU_DEP_1) | instskip(SKIP_2) | instid1(SALU_CYCLE_1)
	v_cmp_ne_u32_e32 vcc_lo, 0, v9
	v_and_b32_e32 v9, 16, v30
	s_and_b32 s19, vcc_lo, s13
	s_and_saveexec_b32 s13, s19
	s_cbranch_execz .LBB4_133
; %bb.132:                              ;   in Loop: Header=BB4_57 Depth=2
	v_mov_b32_e32 v9, 1
	global_wb scope:SCOPE_SYS
	s_wait_storecnt 0x0
	s_wait_loadcnt_dscnt 0x0
	global_inv scope:SCOPE_SYS
.LBB4_133:                              ;   in Loop: Header=BB4_57 Depth=2
	s_or_b32 exec_lo, exec_lo, s13
	s_and_not1_saveexec_b32 s13, s18
	s_cbranch_execz .LBB4_191
	s_branch .LBB4_173
.LBB4_134:                              ;   in Loop: Header=BB4_57 Depth=2
	s_delay_alu instid0(VALU_DEP_1) | instskip(SKIP_1) | instid1(VALU_DEP_1)
	v_ashrrev_i32_e32 v18, 31, v11
	s_mov_b32 s13, exec_lo
	v_lshrrev_b32_e32 v18, 21, v18
	s_delay_alu instid0(VALU_DEP_1) | instskip(NEXT) | instid1(VALU_DEP_1)
	v_add_nc_u32_e32 v18, v11, v18
	v_ashrrev_i32_e32 v23, 11, v18
	s_delay_alu instid0(VALU_DEP_1) | instskip(NEXT) | instid1(VALU_DEP_1)
	v_sub_nc_u32_e32 v22, v23, v106
	v_cmpx_lt_i32_e32 0, v22
	s_cbranch_execz .LBB4_138
; %bb.135:                              ;   in Loop: Header=BB4_57 Depth=2
	v_mov_b64_e32 v[18:19], v[16:17]
	v_mov_b64_e32 v[20:21], v[14:15]
	s_mov_b32 s18, 0
.LBB4_136:                              ;   Parent Loop BB4_47 Depth=1
                                        ;     Parent Loop BB4_57 Depth=2
                                        ; =>    This Inner Loop Header: Depth=3
	s_delay_alu instid0(VALU_DEP_1) | instskip(SKIP_1) | instid1(VALU_DEP_4)
	v_add_nc_u64_e32 v[60:61], v[84:85], v[20:21]
	v_sub_nc_u32_e32 v22, v22, v52
	v_add_nc_u64_e32 v[72:73], v[84:85], v[18:19]
	v_add_nc_u64_e32 v[20:21], v[20:21], v[66:67]
	;; [unrolled: 1-line block ×3, first 2 shown]
	s_clause 0x3
	global_load_b128 v[40:43], v[60:61], off th:TH_LOAD_NT
	global_load_b128 v[44:47], v[60:61], off offset:512 th:TH_LOAD_NT
	global_load_b128 v[56:59], v[60:61], off offset:1024 th:TH_LOAD_NT
	;; [unrolled: 1-line block ×3, first 2 shown]
	v_cmp_gt_i32_e32 vcc_lo, 1, v22
	s_wait_loadcnt 0x3
	global_store_b128 v[72:73], v[40:43], off th:TH_STORE_NT
	s_wait_loadcnt 0x2
	global_store_b128 v[72:73], v[44:47], off offset:512 th:TH_STORE_NT
	s_wait_loadcnt 0x1
	global_store_b128 v[72:73], v[56:59], off offset:1024 th:TH_STORE_NT
	;; [unrolled: 2-line block ×3, first 2 shown]
	s_or_b32 s18, vcc_lo, s18
	s_wait_xcnt 0x0
	s_and_not1_b32 exec_lo, exec_lo, s18
	s_cbranch_execnz .LBB4_136
; %bb.137:                              ;   in Loop: Header=BB4_57 Depth=2
	s_or_b32 exec_lo, exec_lo, s18
.LBB4_138:                              ;   in Loop: Header=BB4_57 Depth=2
	s_delay_alu instid0(SALU_CYCLE_1) | instskip(SKIP_3) | instid1(VALU_DEP_1)
	s_or_b32 exec_lo, exec_lo, s13
	v_dual_lshlrev_b32 v20, 11, v23 :: v_dual_mov_b32 v40, 0
	s_mov_b32 s19, 0
	s_mov_b32 s18, exec_lo
                                        ; implicit-def: $vgpr41
	v_cmpx_ne_u32_e64 v11, v20
	s_cbranch_execz .LBB4_144
; %bb.139:                              ;   in Loop: Header=BB4_57 Depth=2
	v_dual_lshlrev_b32 v18, 5, v22 :: v_dual_sub_nc_u32 v26, v11, v20
	s_mov_b32 s19, exec_lo
	s_delay_alu instid0(VALU_DEP_1) | instskip(NEXT) | instid1(VALU_DEP_2)
	v_sub_nc_u32_e32 v18, v105, v18
	v_ashrrev_i32_e32 v21, 31, v26
	s_delay_alu instid0(VALU_DEP_1) | instskip(NEXT) | instid1(VALU_DEP_1)
	v_dual_ashrrev_i32 v19, 31, v18 :: v_dual_lshrrev_b32 v21, 23, v21
	v_lshrrev_b32_e32 v19, 27, v19
	s_delay_alu instid0(VALU_DEP_1) | instskip(NEXT) | instid1(VALU_DEP_3)
	v_add_nc_u32_e32 v19, v18, v19
	v_add_nc_u32_e32 v27, v26, v21
	s_delay_alu instid0(VALU_DEP_2) | instskip(NEXT) | instid1(VALU_DEP_1)
	v_and_b32_e32 v22, 0xffffffe0, v19
	v_dual_ashrrev_i32 v19, 5, v19 :: v_dual_sub_nc_u32 v21, v18, v22
	s_delay_alu instid0(VALU_DEP_3) | instskip(NEXT) | instid1(VALU_DEP_2)
	v_and_b32_e32 v22, 0xfffffe00, v27
	v_dual_ashrrev_i32 v27, 9, v27 :: v_dual_lshlrev_b32 v18, 4, v21
	s_delay_alu instid0(VALU_DEP_2) | instskip(NEXT) | instid1(VALU_DEP_2)
	v_sub_nc_u32_e32 v23, v26, v22
	v_lshl_add_u32 v18, v19, 9, v18
	s_delay_alu instid0(VALU_DEP_2) | instskip(NEXT) | instid1(VALU_DEP_4)
	v_cmp_lt_i32_e32 vcc_lo, 15, v23
	v_add_co_ci_u32_e64 v27, null, 0, v27, vcc_lo
	s_delay_alu instid0(VALU_DEP_1) | instskip(NEXT) | instid1(VALU_DEP_1)
	v_dual_sub_nc_u32 v41, v26, v18 :: v_dual_sub_nc_u32 v40, v27, v19
	v_cmpx_lt_i32_e32 15, v41
	s_cbranch_execz .LBB4_143
; %bb.140:                              ;   in Loop: Header=BB4_57 Depth=2
	v_add_nc_u32_e32 v18, v18, v20
	s_mov_b32 s20, 0
	s_delay_alu instid0(VALU_DEP_1)
	v_ashrrev_i32_e32 v19, 31, v18
.LBB4_141:                              ;   Parent Loop BB4_47 Depth=1
                                        ;     Parent Loop BB4_57 Depth=2
                                        ; =>    This Inner Loop Header: Depth=3
	s_delay_alu instid0(VALU_DEP_1) | instskip(SKIP_4) | instid1(VALU_DEP_4)
	v_add_nc_u64_e32 v[42:43], v[14:15], v[18:19]
	v_sub_nc_u32_e32 v41, v41, v68
	v_add_nc_u64_e32 v[46:47], v[16:17], v[18:19]
	v_add_nc_u64_e32 v[18:19], v[18:19], v[68:69]
	v_sub_nc_u32_e32 v40, v40, v52
	v_cmp_gt_i32_e64 s13, 16, v41
	global_load_b128 v[42:45], v[42:43], off th:TH_LOAD_NT
	s_or_b32 s20, s13, s20
	s_wait_loadcnt 0x0
	global_store_b128 v[46:47], v[42:45], off th:TH_STORE_NT
	s_wait_xcnt 0x0
	s_and_not1_b32 exec_lo, exec_lo, s20
	s_cbranch_execnz .LBB4_141
; %bb.142:                              ;   in Loop: Header=BB4_57 Depth=2
	s_or_b32 exec_lo, exec_lo, s20
.LBB4_143:                              ;   in Loop: Header=BB4_57 Depth=2
	s_delay_alu instid0(SALU_CYCLE_1) | instskip(NEXT) | instid1(VALU_DEP_2)
	s_or_b32 exec_lo, exec_lo, s19
	v_cmp_lt_i32_e64 s13, 0, v40
	s_delay_alu instid0(VALU_DEP_1) | instskip(NEXT) | instid1(VALU_DEP_1)
	v_dual_cndmask_b32 v19, 0, v52, s13 :: v_dual_bitop2_b32 v11, 12, v11 bitop3:0x40
	v_dual_cndmask_b32 v11, v23, v11 :: v_dual_sub_nc_u32 v18, v23, v11
	s_delay_alu instid0(VALU_DEP_1) | instskip(NEXT) | instid1(VALU_DEP_2)
	v_dual_cndmask_b32 v18, 0, v18 :: v_dual_sub_nc_u32 v19, v19, v40
	v_cmp_ne_u32_e32 vcc_lo, 0, v11
	s_delay_alu instid0(VALU_DEP_2) | instskip(NEXT) | instid1(VALU_DEP_3)
	v_lshl_add_u32 v41, v19, 5, v21
	v_add3_u32 v40, v22, v20, v18
	s_and_b32 s19, vcc_lo, exec_lo
.LBB4_144:                              ;   in Loop: Header=BB4_57 Depth=2
	s_or_b32 exec_lo, exec_lo, s18
	s_and_saveexec_b32 s13, s19
	s_cbranch_execz .LBB4_153
.LBB4_145:                              ;   in Loop: Header=BB4_57 Depth=2
	s_delay_alu instid0(VALU_DEP_1) | instskip(SKIP_1) | instid1(VALU_DEP_1)
	v_dual_ashrrev_i32 v18, 31, v41 :: v_dual_ashrrev_i32 v19, 31, v11
	s_mov_b32 s18, exec_lo
	v_dual_lshrrev_b32 v18, 27, v18 :: v_dual_lshrrev_b32 v19, 23, v19
	s_delay_alu instid0(VALU_DEP_1) | instskip(NEXT) | instid1(VALU_DEP_1)
	v_dual_add_nc_u32 v18, v41, v18 :: v_dual_add_nc_u32 v19, v11, v19
	v_dual_ashrrev_i32 v42, 5, v18 :: v_dual_ashrrev_i32 v44, 9, v19
	s_delay_alu instid0(VALU_DEP_1) | instskip(NEXT) | instid1(VALU_DEP_1)
	v_sub_nc_u32_e32 v43, v44, v42
	v_cmpx_lt_i32_e32 0, v43
	s_cbranch_execz .LBB4_149
; %bb.146:                              ;   in Loop: Header=BB4_57 Depth=2
	v_and_b32_e32 v18, 0x3fffffe0, v18
	v_lshlrev_b32_e32 v19, 9, v42
	v_mov_b64_e32 v[20:21], v[16:17]
	v_mov_b64_e32 v[22:23], v[14:15]
	s_mov_b32 s19, 0
	v_sub_nc_u32_e32 v18, v41, v18
	s_delay_alu instid0(VALU_DEP_1) | instskip(NEXT) | instid1(VALU_DEP_1)
	v_lshlrev_b32_e32 v18, 2, v18
	v_add3_u32 v18, v18, v40, v19
	s_delay_alu instid0(VALU_DEP_1)
	v_ashrrev_i32_e32 v19, 31, v18
.LBB4_147:                              ;   Parent Loop BB4_47 Depth=1
                                        ;     Parent Loop BB4_57 Depth=2
                                        ; =>    This Inner Loop Header: Depth=3
	s_delay_alu instid0(VALU_DEP_1)
	v_add_nc_u64_e32 v[46:47], v[18:19], v[22:23]
	v_sub_nc_u32_e32 v43, v43, v52
	v_add_nc_u64_e32 v[22:23], v[22:23], v[68:69]
	s_clause 0x3
	flat_load_b32 v26, v[46:47] th:TH_LOAD_NT
	flat_load_b32 v27, v[46:47] offset:128 th:TH_LOAD_NT
	flat_load_b32 v45, v[46:47] offset:256 th:TH_LOAD_NT
	flat_load_b32 v56, v[46:47] offset:384 th:TH_LOAD_NT
	s_wait_xcnt 0x0
	v_add_nc_u64_e32 v[46:47], v[18:19], v[20:21]
	v_cmp_gt_i32_e32 vcc_lo, 1, v43
	v_add_nc_u64_e32 v[20:21], v[20:21], v[68:69]
	s_wait_loadcnt_dscnt 0x303
	flat_store_b32 v[46:47], v26 th:TH_STORE_NT
	s_wait_loadcnt_dscnt 0x203
	flat_store_b32 v[46:47], v27 offset:128 th:TH_STORE_NT
	s_wait_loadcnt_dscnt 0x103
	flat_store_b32 v[46:47], v45 offset:256 th:TH_STORE_NT
	;; [unrolled: 2-line block ×3, first 2 shown]
	s_or_b32 s19, vcc_lo, s19
	s_wait_xcnt 0x0
	s_and_not1_b32 exec_lo, exec_lo, s19
	s_cbranch_execnz .LBB4_147
; %bb.148:                              ;   in Loop: Header=BB4_57 Depth=2
	s_or_b32 exec_lo, exec_lo, s19
.LBB4_149:                              ;   in Loop: Header=BB4_57 Depth=2
	s_delay_alu instid0(SALU_CYCLE_1) | instskip(SKIP_1) | instid1(VALU_DEP_1)
	s_or_b32 exec_lo, exec_lo, s18
	v_lshlrev_b32_e32 v18, 9, v44
	v_cmp_ne_u32_e32 vcc_lo, v11, v18
	s_and_b32 exec_lo, exec_lo, vcc_lo
	s_cbranch_execz .LBB4_153
; %bb.150:                              ;   in Loop: Header=BB4_57 Depth=2
	v_dual_lshlrev_b32 v19, 5, v42 :: v_dual_lshlrev_b32 v20, 5, v43
	s_delay_alu instid0(VALU_DEP_1) | instskip(NEXT) | instid1(VALU_DEP_1)
	v_sub_nc_u32_e32 v19, v41, v19
	v_sub_nc_u32_e32 v19, v19, v20
	s_delay_alu instid0(VALU_DEP_1) | instskip(NEXT) | instid1(VALU_DEP_1)
	v_ashrrev_i32_e32 v20, 31, v19
	v_lshrrev_b32_e32 v20, 27, v20
	s_delay_alu instid0(VALU_DEP_1) | instskip(NEXT) | instid1(VALU_DEP_1)
	v_add_nc_u32_e32 v20, v19, v20
	v_and_b32_e32 v21, 0x3fffffe0, v20
	s_delay_alu instid0(VALU_DEP_1) | instskip(NEXT) | instid1(VALU_DEP_1)
	v_dual_lshlrev_b32 v20, 2, v20 :: v_dual_sub_nc_u32 v19, v19, v21
	v_and_b32_e32 v20, 0xffffff80, v20
	s_delay_alu instid0(VALU_DEP_2) | instskip(NEXT) | instid1(VALU_DEP_1)
	v_lshlrev_b32_e32 v19, 2, v19
	v_add3_u32 v18, v20, v19, v18
	s_delay_alu instid0(VALU_DEP_1) | instskip(NEXT) | instid1(VALU_DEP_1)
	v_sub_nc_u32_e32 v11, v11, v18
	v_cmp_lt_i32_e32 vcc_lo, 3, v11
	s_and_b32 exec_lo, exec_lo, vcc_lo
	s_cbranch_execz .LBB4_153
; %bb.151:                              ;   in Loop: Header=BB4_57 Depth=2
	v_add_nc_u32_e32 v18, v18, v40
	s_mov_b32 s18, 0
	s_delay_alu instid0(VALU_DEP_1)
	v_ashrrev_i32_e32 v19, 31, v18
.LBB4_152:                              ;   Parent Loop BB4_47 Depth=1
                                        ;     Parent Loop BB4_57 Depth=2
                                        ; =>    This Inner Loop Header: Depth=3
	s_delay_alu instid0(VALU_DEP_1) | instskip(SKIP_1) | instid1(VALU_DEP_1)
	v_add_nc_u64_e32 v[20:21], v[14:15], v[18:19]
	v_sub_nc_u32_e32 v11, v11, v70
	v_cmp_gt_i32_e32 vcc_lo, 4, v11
	flat_load_b32 v22, v[20:21] th:TH_LOAD_NT
	s_wait_xcnt 0x0
	v_add_nc_u64_e32 v[20:21], v[16:17], v[18:19]
	v_add_nc_u64_e32 v[18:19], v[18:19], v[70:71]
	s_or_b32 s18, vcc_lo, s18
	s_wait_loadcnt_dscnt 0x0
	flat_store_b32 v[20:21], v22 th:TH_STORE_NT
	s_wait_xcnt 0x0
	s_and_not1_b32 exec_lo, exec_lo, s18
	s_cbranch_execnz .LBB4_152
.LBB4_153:                              ;   in Loop: Header=BB4_57 Depth=2
	s_or_b32 exec_lo, exec_lo, s13
	v_cmp_lt_i32_e64 s13, 0, v9
	s_and_saveexec_b32 s18, s2
	s_cbranch_execz .LBB4_130
.LBB4_154:                              ;   in Loop: Header=BB4_57 Depth=2
	s_and_saveexec_b32 s19, s3
	s_delay_alu instid0(SALU_CYCLE_1)
	s_xor_b32 s19, exec_lo, s19
	s_cbranch_execz .LBB4_169
; %bb.155:                              ;   in Loop: Header=BB4_57 Depth=2
	s_and_saveexec_b32 s20, s6
	s_cbranch_execz .LBB4_168
; %bb.156:                              ;   in Loop: Header=BB4_57 Depth=2
	s_mov_b32 s24, exec_lo
	s_mov_b32 s21, exec_lo
	v_mbcnt_lo_u32_b32 v9, s24, 0
	global_wb scope:SCOPE_DEV
	s_wait_storecnt 0x0
	s_wait_loadcnt_dscnt 0x0
	global_inv scope:SCOPE_DEV
	v_cmpx_eq_u32_e32 0, v9
	s_cbranch_execz .LBB4_158
; %bb.157:                              ;   in Loop: Header=BB4_57 Depth=2
	s_bcnt1_i32_b32 s24, s24
	s_delay_alu instid0(SALU_CYCLE_1)
	v_dual_mov_b32 v15, v2 :: v_dual_mov_b32 v14, s24
	s_wait_loadcnt 0x0
	ds_add_u64 v0, v[14:15]
	s_trap 2
.LBB4_158:                              ;   in Loop: Header=BB4_57 Depth=2
	s_or_b32 exec_lo, exec_lo, s21
	s_trap 2
	ds_load_b64 v[14:15], v0
	s_wait_dscnt 0x0
	v_add_nc_u64_e32 v[48:49], v[48:49], v[52:53]
	s_mov_b32 s21, exec_lo
	s_delay_alu instid0(VALU_DEP_1)
	v_cmpx_lt_u64_e64 v[14:15], v[48:49]
	s_cbranch_execz .LBB4_167
; %bb.159:                              ;   in Loop: Header=BB4_57 Depth=2
	s_mov_b32 s24, 0
	s_mov_b32 s73, 0
                                        ; implicit-def: $sgpr43
                                        ; implicit-def: $sgpr72
	s_branch .LBB4_161
.LBB4_160:                              ;   in Loop: Header=BB4_161 Depth=3
	s_or_b32 exec_lo, exec_lo, s75
	s_delay_alu instid0(SALU_CYCLE_1) | instskip(NEXT) | instid1(SALU_CYCLE_1)
	s_and_b32 s74, exec_lo, s76
	s_or_b32 s24, s74, s24
	s_and_not1_b32 s43, s43, exec_lo
	s_and_b32 s74, s72, exec_lo
	s_delay_alu instid0(SALU_CYCLE_1)
	s_or_b32 s43, s43, s74
	s_and_not1_b32 exec_lo, exec_lo, s24
	s_cbranch_execz .LBB4_165
.LBB4_161:                              ;   Parent Loop BB4_47 Depth=1
                                        ;     Parent Loop BB4_57 Depth=2
                                        ; =>    This Inner Loop Header: Depth=3
	s_add_co_i32 s73, s73, 1
	s_delay_alu instid0(SALU_CYCLE_1) | instskip(SKIP_1) | instid1(SALU_CYCLE_1)
	s_cmp_lg_u32 s73, 0x2710
	s_cselect_b32 s74, -1, 0
	s_and_b32 vcc_lo, exec_lo, s74
	s_cbranch_vccz .LBB4_163
; %bb.162:                              ;   in Loop: Header=BB4_161 Depth=3
	s_mov_b32 s76, -1
	s_or_b32 s72, s72, exec_lo
	s_and_saveexec_b32 s75, s74
	s_cbranch_execz .LBB4_160
	s_branch .LBB4_164
.LBB4_163:                              ;   in Loop: Header=BB4_161 Depth=3
	s_trap 2
	ds_load_b64 v[14:15], v0
	s_and_not1_b32 s74, s74, exec_lo
	s_mov_b32 s73, 0
	s_wait_loadcnt_dscnt 0x0
	flat_load_b32 v9, v[14:15] scope:SCOPE_SYS
	s_wait_loadcnt_dscnt 0x0
	global_inv scope:SCOPE_SYS
	v_cmp_eq_u32_e32 vcc_lo, 0, v9
	s_and_b32 s75, vcc_lo, exec_lo
	s_delay_alu instid0(SALU_CYCLE_1)
	s_or_b32 s74, s74, s75
	s_mov_b32 s76, -1
	s_or_b32 s72, s72, exec_lo
	s_and_saveexec_b32 s75, s74
	s_cbranch_execz .LBB4_160
.LBB4_164:                              ;   in Loop: Header=BB4_161 Depth=3
	s_sleep 1
	s_trap 2
	ds_load_b64 v[14:15], v0
	s_wait_dscnt 0x0
	s_and_not1_b32 s72, s72, exec_lo
	v_cmp_ge_u64_e32 vcc_lo, v[14:15], v[48:49]
	s_or_not1_b32 s76, vcc_lo, exec_lo
	s_branch .LBB4_160
.LBB4_165:                              ;   in Loop: Header=BB4_57 Depth=2
	s_or_b32 exec_lo, exec_lo, s24
	s_and_saveexec_b32 s24, s43
	s_delay_alu instid0(SALU_CYCLE_1)
	s_xor_b32 s24, exec_lo, s24
	s_cbranch_execz .LBB4_167
; %bb.166:                              ;   in Loop: Header=BB4_57 Depth=2
	ds_store_b32 v0, v107
	s_trap 2
.LBB4_167:                              ;   in Loop: Header=BB4_57 Depth=2
	s_or_b32 exec_lo, exec_lo, s21
	;;#ASMSTART
	s_wakeup
	;;#ASMEND
.LBB4_168:                              ;   in Loop: Header=BB4_57 Depth=2
	s_or_b32 exec_lo, exec_lo, s20
.LBB4_169:                              ;   in Loop: Header=BB4_57 Depth=2
	s_and_not1_saveexec_b32 s19, s19
	s_cbranch_execz .LBB4_171
; %bb.170:                              ;   in Loop: Header=BB4_57 Depth=2
	global_wb scope:SCOPE_DEV
	s_wait_storecnt 0x0
	s_wait_loadcnt_dscnt 0x0
	global_inv scope:SCOPE_DEV
	s_barrier_signal -1
	s_barrier_wait -1
.LBB4_171:                              ;   in Loop: Header=BB4_57 Depth=2
	s_or_b32 exec_lo, exec_lo, s19
	s_delay_alu instid0(SALU_CYCLE_1) | instskip(SKIP_1) | instid1(SALU_CYCLE_1)
	s_or_b32 exec_lo, exec_lo, s18
                                        ; implicit-def: $vgpr9
	s_and_saveexec_b32 s18, s12
	s_xor_b32 s18, exec_lo, s18
	s_cbranch_execnz .LBB4_131
.LBB4_172:                              ;   in Loop: Header=BB4_57 Depth=2
	s_and_not1_saveexec_b32 s13, s18
	s_cbranch_execz .LBB4_191
.LBB4_173:                              ;   in Loop: Header=BB4_57 Depth=2
	s_and_saveexec_b32 s18, s3
	s_delay_alu instid0(SALU_CYCLE_1)
	s_xor_b32 s18, exec_lo, s18
	s_cbranch_execz .LBB4_188
; %bb.174:                              ;   in Loop: Header=BB4_57 Depth=2
	s_and_saveexec_b32 s19, s6
	s_cbranch_execz .LBB4_187
; %bb.175:                              ;   in Loop: Header=BB4_57 Depth=2
	s_mov_b32 s21, exec_lo
	s_mov_b32 s20, exec_lo
	v_mbcnt_lo_u32_b32 v9, s21, 0
	;;#ASMSTART
	s_waitcnt lgkmcnt(0) vmcnt(0)
	;;#ASMEND
	s_delay_alu instid0(VALU_DEP_1)
	v_cmpx_eq_u32_e32 0, v9
	s_cbranch_execz .LBB4_177
; %bb.176:                              ;   in Loop: Header=BB4_57 Depth=2
	s_bcnt1_i32_b32 s21, s21
	s_delay_alu instid0(SALU_CYCLE_1)
	v_dual_mov_b32 v15, v2 :: v_dual_mov_b32 v14, s21
	s_wait_storecnt 0x0
	s_wait_loadcnt_dscnt 0x0
	ds_add_u64 v0, v[14:15]
	s_trap 2
.LBB4_177:                              ;   in Loop: Header=BB4_57 Depth=2
	s_or_b32 exec_lo, exec_lo, s20
	s_trap 2
	ds_load_b64 v[14:15], v0
	s_wait_dscnt 0x0
	v_add_nc_u64_e32 v[48:49], v[48:49], v[52:53]
	s_mov_b32 s20, exec_lo
	s_delay_alu instid0(VALU_DEP_1)
	v_cmpx_lt_u64_e64 v[14:15], v[48:49]
	s_cbranch_execz .LBB4_186
; %bb.178:                              ;   in Loop: Header=BB4_57 Depth=2
	s_mov_b32 s21, 0
	s_mov_b32 s72, 0
                                        ; implicit-def: $sgpr24
                                        ; implicit-def: $sgpr43
	s_branch .LBB4_180
.LBB4_179:                              ;   in Loop: Header=BB4_180 Depth=3
	s_or_b32 exec_lo, exec_lo, s74
	s_delay_alu instid0(SALU_CYCLE_1) | instskip(NEXT) | instid1(SALU_CYCLE_1)
	s_and_b32 s73, exec_lo, s75
	s_or_b32 s21, s73, s21
	s_and_not1_b32 s24, s24, exec_lo
	s_and_b32 s73, s43, exec_lo
	s_delay_alu instid0(SALU_CYCLE_1)
	s_or_b32 s24, s24, s73
	s_and_not1_b32 exec_lo, exec_lo, s21
	s_cbranch_execz .LBB4_184
.LBB4_180:                              ;   Parent Loop BB4_47 Depth=1
                                        ;     Parent Loop BB4_57 Depth=2
                                        ; =>    This Inner Loop Header: Depth=3
	s_add_co_i32 s72, s72, 1
	s_delay_alu instid0(SALU_CYCLE_1) | instskip(SKIP_1) | instid1(SALU_CYCLE_1)
	s_cmp_lg_u32 s72, 0x2710
	s_cselect_b32 s73, -1, 0
	s_and_b32 vcc_lo, exec_lo, s73
	s_cbranch_vccz .LBB4_182
; %bb.181:                              ;   in Loop: Header=BB4_180 Depth=3
	s_mov_b32 s75, -1
	s_or_b32 s43, s43, exec_lo
	s_and_saveexec_b32 s74, s73
	s_cbranch_execz .LBB4_179
	s_branch .LBB4_183
.LBB4_182:                              ;   in Loop: Header=BB4_180 Depth=3
	s_trap 2
	ds_load_b64 v[14:15], v0
	s_and_not1_b32 s73, s73, exec_lo
	s_mov_b32 s72, 0
	s_wait_storecnt 0x0
	s_wait_loadcnt_dscnt 0x0
	flat_load_b32 v9, v[14:15] scope:SCOPE_SYS
	s_wait_loadcnt_dscnt 0x0
	global_inv scope:SCOPE_SYS
	v_cmp_eq_u32_e32 vcc_lo, 0, v9
	s_and_b32 s74, vcc_lo, exec_lo
	s_delay_alu instid0(SALU_CYCLE_1)
	s_or_b32 s73, s73, s74
	s_mov_b32 s75, -1
	s_or_b32 s43, s43, exec_lo
	s_and_saveexec_b32 s74, s73
	s_cbranch_execz .LBB4_179
.LBB4_183:                              ;   in Loop: Header=BB4_180 Depth=3
	s_sleep 1
	s_trap 2
	ds_load_b64 v[14:15], v0
	s_wait_dscnt 0x0
	s_and_not1_b32 s43, s43, exec_lo
	v_cmp_ge_u64_e32 vcc_lo, v[14:15], v[48:49]
	s_or_not1_b32 s75, vcc_lo, exec_lo
	s_branch .LBB4_179
.LBB4_184:                              ;   in Loop: Header=BB4_57 Depth=2
	s_or_b32 exec_lo, exec_lo, s21
	s_and_saveexec_b32 s21, s24
	s_delay_alu instid0(SALU_CYCLE_1)
	s_xor_b32 s21, exec_lo, s21
	s_cbranch_execz .LBB4_186
; %bb.185:                              ;   in Loop: Header=BB4_57 Depth=2
	ds_store_b32 v0, v107
	s_trap 2
.LBB4_186:                              ;   in Loop: Header=BB4_57 Depth=2
	s_or_b32 exec_lo, exec_lo, s20
	;;#ASMSTART
	s_wakeup
	;;#ASMEND
.LBB4_187:                              ;   in Loop: Header=BB4_57 Depth=2
	s_or_b32 exec_lo, exec_lo, s19
.LBB4_188:                              ;   in Loop: Header=BB4_57 Depth=2
	s_and_not1_saveexec_b32 s18, s18
	s_cbranch_execz .LBB4_190
; %bb.189:                              ;   in Loop: Header=BB4_57 Depth=2
	;;#ASMSTART
	s_waitcnt lgkmcnt(0) vmcnt(0)
	;;#ASMEND
	s_barrier_signal -1
	s_barrier_wait -1
.LBB4_190:                              ;   in Loop: Header=BB4_57 Depth=2
	s_or_b32 exec_lo, exec_lo, s18
	v_and_b32_e32 v9, 16, v30
.LBB4_191:                              ;   in Loop: Header=BB4_57 Depth=2
	s_or_b32 exec_lo, exec_lo, s13
	s_delay_alu instid0(SALU_CYCLE_1) | instskip(NEXT) | instid1(VALU_DEP_1)
	s_mov_b32 s13, exec_lo
	v_cmpx_ne_u32_e32 0, v9
	s_cbranch_execz .LBB4_56
; %bb.192:                              ;   in Loop: Header=BB4_57 Depth=2
	s_and_saveexec_b32 s18, s5
	s_cbranch_execz .LBB4_55
; %bb.193:                              ;   in Loop: Header=BB4_57 Depth=2
	global_wb scope:SCOPE_SYS
	s_wait_storecnt 0x0
	s_wait_loadcnt_dscnt 0x0
	flat_store_b32 v[38:39], v107 scope:SCOPE_SYS
	s_branch .LBB4_55
.LBB4_194:                              ;   in Loop: Header=BB4_47 Depth=1
	s_or_b32 exec_lo, exec_lo, s15
.LBB4_195:                              ;   in Loop: Header=BB4_47 Depth=1
	s_delay_alu instid0(SALU_CYCLE_1) | instskip(NEXT) | instid1(SALU_CYCLE_1)
	s_or_b32 exec_lo, exec_lo, s14
	s_mov_b32 s14, exec_lo
	v_cmpx_gt_i32_e32 2, v9
	s_cbranch_execz .LBB4_269
; %bb.196:                              ;   in Loop: Header=BB4_47 Depth=1
	v_cmp_eq_u32_e64 s16, 0, v9
	s_mov_b32 s15, 0
	s_branch .LBB4_199
.LBB4_197:                              ;   in Loop: Header=BB4_199 Depth=2
	s_wait_xcnt 0x0
	s_or_b32 exec_lo, exec_lo, s16
	v_add_nc_u64_e32 v[114:115], 2, v[114:115]
	global_wb scope:SCOPE_SYS
	s_wait_storecnt 0x0
	s_wait_loadcnt_dscnt 0x0
	flat_store_b64 v[32:33], v[114:115] scope:SCOPE_SYS
.LBB4_198:                              ;   in Loop: Header=BB4_199 Depth=2
	s_wait_xcnt 0x0
	s_or_b32 exec_lo, exec_lo, s13
	v_add_nc_u32_e32 v10, v8, v10
	s_mov_b32 s16, 0
	s_and_not1_b32 exec_lo, exec_lo, s15
	s_cbranch_execz .LBB4_268
.LBB4_199:                              ;   Parent Loop BB4_47 Depth=1
                                        ; =>  This Loop Header: Depth=2
                                        ;       Child Loop BB4_205 Depth 3
                                        ;       Child Loop BB4_229 Depth 3
	;; [unrolled: 1-line block ×3, first 2 shown]
	s_delay_alu instid0(VALU_DEP_1) | instskip(SKIP_2) | instid1(VALU_DEP_2)
	v_sub_nc_u32_e32 v9, v3, v10
	v_and_b32_e32 v11, 8, v30
	s_mov_b32 s17, exec_lo
	v_min_i32_e32 v8, v8, v9
	s_delay_alu instid0(VALU_DEP_2)
	v_cmpx_ne_u32_e32 0, v11
	s_cbranch_execz .LBB4_221
; %bb.200:                              ;   in Loop: Header=BB4_199 Depth=2
	s_wait_loadcnt_dscnt 0x1
	v_add_nc_u64_e32 v[14:15], 8, v[50:51]
	v_add_nc_u64_e32 v[12:13], 2, v[114:115]
	s_mov_b32 s18, exec_lo
	s_delay_alu instid0(VALU_DEP_1)
	v_cmpx_lt_u64_e64 v[14:15], v[12:13]
	s_cbranch_execz .LBB4_212
; %bb.201:                              ;   in Loop: Header=BB4_199 Depth=2
	v_and_b32_e32 v9, 64, v30
	s_mov_b32 s19, 0
	s_mov_b32 s43, 0
                                        ; implicit-def: $sgpr20
                                        ; implicit-def: $sgpr21
                                        ; implicit-def: $sgpr24
	s_delay_alu instid0(VALU_DEP_1)
	v_cmp_eq_u32_e32 vcc_lo, 0, v9
	s_branch .LBB4_205
.LBB4_202:                              ;   in Loop: Header=BB4_205 Depth=3
	s_wait_loadcnt_dscnt 0x0
	v_add_nc_u64_e32 v[14:15], 8, v[50:51]
	s_or_b32 s74, s74, exec_lo
	s_delay_alu instid0(VALU_DEP_1)
	v_cmp_ge_u64_e64 s13, v[14:15], v[12:13]
	s_or_not1_b32 s73, s13, exec_lo
.LBB4_203:                              ;   in Loop: Header=BB4_205 Depth=3
	s_or_b32 exec_lo, exec_lo, s76
	s_delay_alu instid0(SALU_CYCLE_1)
	s_and_not1_b32 s13, s24, exec_lo
	s_and_b32 s24, s74, exec_lo
	s_and_not1_b32 s21, s21, exec_lo
	s_and_b32 s73, s73, exec_lo
	s_or_b32 s24, s13, s24
	s_or_b32 s21, s21, s73
.LBB4_204:                              ;   in Loop: Header=BB4_205 Depth=3
	s_or_b32 exec_lo, exec_lo, s72
	s_delay_alu instid0(SALU_CYCLE_1) | instskip(NEXT) | instid1(SALU_CYCLE_1)
	s_and_b32 s13, exec_lo, s21
	s_or_b32 s19, s13, s19
	s_and_not1_b32 s13, s20, exec_lo
	s_and_b32 s20, s24, exec_lo
	s_delay_alu instid0(SALU_CYCLE_1)
	s_or_b32 s20, s13, s20
	s_and_not1_b32 exec_lo, exec_lo, s19
	s_cbranch_execz .LBB4_209
.LBB4_205:                              ;   Parent Loop BB4_47 Depth=1
                                        ;     Parent Loop BB4_199 Depth=2
                                        ; =>    This Inner Loop Header: Depth=3
	s_sleep 1
	s_wait_loadcnt_dscnt 0x0
	flat_load_b64 v[50:51], v[32:33] scope:SCOPE_SYS
	s_or_b32 s24, s24, exec_lo
	s_or_b32 s21, s21, exec_lo
                                        ; implicit-def: $vgpr9
	s_wait_xcnt 0x0
	s_and_saveexec_b32 s72, vcc_lo
	s_cbranch_execz .LBB4_204
; %bb.206:                              ;   in Loop: Header=BB4_205 Depth=3
	s_cmp_lt_i32 s43, 0x270f
	s_mov_b32 s73, -1
	s_cselect_b32 s75, -1, 0
	s_cmp_gt_i32 s43, 0x270e
	s_cbranch_scc0 .LBB4_208
; %bb.207:                              ;   in Loop: Header=BB4_205 Depth=3
	s_trap 2
	ds_load_b64 v[14:15], v0
	s_and_not1_b32 s43, s75, exec_lo
	s_mov_b32 s74, 0
	s_wait_storecnt 0x0
	s_wait_loadcnt_dscnt 0x0
	flat_load_b32 v9, v[14:15] scope:SCOPE_SYS
	s_wait_loadcnt_dscnt 0x0
	global_inv scope:SCOPE_SYS
	v_cmp_eq_u32_e64 s13, 0, v9
	s_and_b32 s13, s13, exec_lo
	s_delay_alu instid0(SALU_CYCLE_1)
	s_or_b32 s75, s43, s13
	s_mov_b32 s43, 0
	s_and_saveexec_b32 s76, s75
	s_cbranch_execz .LBB4_203
	s_branch .LBB4_202
.LBB4_208:                              ;   in Loop: Header=BB4_205 Depth=3
	s_add_co_i32 s43, s43, 1
	s_mov_b32 s74, -1
                                        ; implicit-def: $vgpr9
	s_and_saveexec_b32 s76, s75
	s_cbranch_execz .LBB4_203
	s_branch .LBB4_202
.LBB4_209:                              ;   in Loop: Header=BB4_199 Depth=2
	s_or_b32 exec_lo, exec_lo, s19
	s_xor_b32 s13, s20, -1
	s_delay_alu instid0(SALU_CYCLE_1) | instskip(NEXT) | instid1(SALU_CYCLE_1)
	s_and_saveexec_b32 s19, s13
	s_xor_b32 s13, exec_lo, s19
	s_cbranch_execz .LBB4_211
; %bb.210:                              ;   in Loop: Header=BB4_199 Depth=2
	v_or_b32_e32 v30, 64, v30
	s_wait_storecnt 0x0
	s_wait_loadcnt_dscnt 0x0
	ds_store_b32 v0, v9
	s_trap 2
.LBB4_211:                              ;   in Loop: Header=BB4_199 Depth=2
	s_or_b32 exec_lo, exec_lo, s13
.LBB4_212:                              ;   in Loop: Header=BB4_199 Depth=2
	s_delay_alu instid0(SALU_CYCLE_1) | instskip(SKIP_4) | instid1(VALU_DEP_1)
	s_or_b32 exec_lo, exec_lo, s18
	v_and_b32_e32 v9, 0x100, v30
	s_mov_b32 s18, 0
	s_mov_b32 s13, exec_lo
	;;#ASMSTART
	s_wakeup
	;;#ASMEND
                                        ; implicit-def: $vgpr14_vgpr15
                                        ; implicit-def: $vgpr16_vgpr17
	v_cmpx_ne_u32_e32 0, v9
	s_xor_b32 s13, exec_lo, s13
	s_cbranch_execz .LBB4_233
; %bb.213:                              ;   in Loop: Header=BB4_199 Depth=2
	v_dual_ashrrev_i32 v9, 31, v8 :: v_dual_bitop2_b32 v14, 7, v114 bitop3:0x40
	s_mov_b32 s18, -1
	s_mov_b32 s19, exec_lo
	s_delay_alu instid0(VALU_DEP_1) | instskip(NEXT) | instid1(VALU_DEP_2)
	v_mad_nc_u64_u32 v[18:19], v14, 24, v[6:7]
	v_lshlrev_b64_e32 v[16:17], 2, v[8:9]
	s_clause 0x1
	flat_load_b32 v11, v[18:19]
	flat_store_b64 v[18:19], v[16:17] offset:8
                                        ; implicit-def: $vgpr16_vgpr17
	s_wait_loadcnt_dscnt 0x1
	v_cmpx_eq_u32_e32 1, v11
	s_cbranch_execz .LBB4_215
; %bb.214:                              ;   in Loop: Header=BB4_199 Depth=2
	flat_load_b32 v16, v[18:19] offset:4 scope:SCOPE_SYS
	s_xor_b32 s18, exec_lo, -1
	s_wait_loadcnt_dscnt 0x0
	v_ashrrev_i32_e32 v17, 31, v16
	s_delay_alu instid0(VALU_DEP_1)
	v_lshrrev_b64 v[16:17], 2, v[16:17]
.LBB4_215:                              ;   in Loop: Header=BB4_199 Depth=2
	s_wait_xcnt 0x0
	s_or_b32 exec_lo, exec_lo, s19
	v_mov_b32_e32 v15, v2
	s_and_b32 s18, s18, exec_lo
                                        ; implicit-def: $vgpr114_vgpr115
	s_and_not1_saveexec_b32 s13, s13
	s_cbranch_execnz .LBB4_234
.LBB4_216:                              ;   in Loop: Header=BB4_199 Depth=2
	s_or_b32 exec_lo, exec_lo, s13
	s_and_saveexec_b32 s13, s18
.LBB4_217:                              ;   in Loop: Header=BB4_199 Depth=2
	v_mul_u64_e32 v[16:17], v[14:15], v[34:35]
.LBB4_218:                              ;   in Loop: Header=BB4_199 Depth=2
	s_or_b32 exec_lo, exec_lo, s13
	v_and_b32_e32 v9, 0x2000, v30
	s_delay_alu instid0(VALU_DEP_2)
	v_lshl_add_u64 v[14:15], v[16:17], 2, v[36:37]
	s_mov_b32 s13, exec_lo
	ds_store_b64 v0, v[14:15] offset:784
	v_cmpx_ne_u32_e32 0, v9
	s_cbranch_execz .LBB4_220
; %bb.219:                              ;   in Loop: Header=BB4_199 Depth=2
	ds_load_b64 v[14:15], v0 offset:872
	s_wait_dscnt 0x0
	v_add_nc_u64_e32 v[14:15], 1, v[14:15]
	ds_store_b64 v0, v[14:15] offset:872
.LBB4_220:                              ;   in Loop: Header=BB4_199 Depth=2
	s_or_b32 exec_lo, exec_lo, s13
	v_mov_b64_e32 v[114:115], v[12:13]
.LBB4_221:                              ;   in Loop: Header=BB4_199 Depth=2
	s_or_b32 exec_lo, exec_lo, s17
	s_xor_b32 s13, s16, -1
	s_delay_alu instid0(SALU_CYCLE_1) | instskip(NEXT) | instid1(SALU_CYCLE_1)
	s_and_b32 s13, exec_lo, s13
	s_or_b32 s15, s13, s15
	s_and_saveexec_b32 s13, s2
	s_cbranch_execz .LBB4_242
; %bb.222:                              ;   in Loop: Header=BB4_199 Depth=2
	s_and_saveexec_b32 s16, s3
	s_delay_alu instid0(SALU_CYCLE_1)
	s_xor_b32 s16, exec_lo, s16
	s_cbranch_execz .LBB4_239
; %bb.223:                              ;   in Loop: Header=BB4_199 Depth=2
	s_and_saveexec_b32 s17, s6
	s_cbranch_execz .LBB4_238
; %bb.224:                              ;   in Loop: Header=BB4_199 Depth=2
	s_mov_b32 s19, exec_lo
	s_mov_b32 s18, exec_lo
	v_mbcnt_lo_u32_b32 v9, s19, 0
	global_wb scope:SCOPE_DEV
	s_wait_storecnt 0x0
	s_wait_loadcnt_dscnt 0x0
	global_inv scope:SCOPE_DEV
	v_cmpx_eq_u32_e32 0, v9
	s_cbranch_execz .LBB4_226
; %bb.225:                              ;   in Loop: Header=BB4_199 Depth=2
	s_bcnt1_i32_b32 s19, s19
	s_delay_alu instid0(SALU_CYCLE_1)
	v_dual_mov_b32 v13, v2 :: v_dual_mov_b32 v12, s19
	s_wait_loadcnt 0x0
	ds_add_u64 v0, v[12:13]
	s_trap 2
.LBB4_226:                              ;   in Loop: Header=BB4_199 Depth=2
	s_or_b32 exec_lo, exec_lo, s18
	s_trap 2
	ds_load_b64 v[12:13], v0
	s_wait_dscnt 0x0
	v_add_nc_u64_e32 v[48:49], v[48:49], v[52:53]
	s_mov_b32 s18, exec_lo
	s_delay_alu instid0(VALU_DEP_1)
	v_cmpx_lt_u64_e64 v[12:13], v[48:49]
	s_cbranch_execz .LBB4_237
; %bb.227:                              ;   in Loop: Header=BB4_199 Depth=2
	s_mov_b32 s19, 0
	s_mov_b32 s24, 0
                                        ; implicit-def: $sgpr20
                                        ; implicit-def: $sgpr21
	s_branch .LBB4_229
.LBB4_228:                              ;   in Loop: Header=BB4_229 Depth=3
	s_or_b32 exec_lo, exec_lo, s72
	s_delay_alu instid0(SALU_CYCLE_1) | instskip(NEXT) | instid1(SALU_CYCLE_1)
	s_and_b32 s43, exec_lo, s73
	s_or_b32 s19, s43, s19
	s_and_not1_b32 s20, s20, exec_lo
	s_and_b32 s43, s21, exec_lo
	s_delay_alu instid0(SALU_CYCLE_1)
	s_or_b32 s20, s20, s43
	s_and_not1_b32 exec_lo, exec_lo, s19
	s_cbranch_execz .LBB4_235
.LBB4_229:                              ;   Parent Loop BB4_47 Depth=1
                                        ;     Parent Loop BB4_199 Depth=2
                                        ; =>    This Inner Loop Header: Depth=3
	s_add_co_i32 s24, s24, 1
	s_delay_alu instid0(SALU_CYCLE_1) | instskip(SKIP_1) | instid1(SALU_CYCLE_1)
	s_cmp_lg_u32 s24, 0x2710
	s_cselect_b32 s43, -1, 0
	s_and_b32 vcc_lo, exec_lo, s43
	s_cbranch_vccz .LBB4_231
; %bb.230:                              ;   in Loop: Header=BB4_229 Depth=3
	s_mov_b32 s73, -1
	s_or_b32 s21, s21, exec_lo
	s_and_saveexec_b32 s72, s43
	s_cbranch_execz .LBB4_228
	s_branch .LBB4_232
.LBB4_231:                              ;   in Loop: Header=BB4_229 Depth=3
	s_trap 2
	ds_load_b64 v[12:13], v0
	s_and_not1_b32 s43, s43, exec_lo
	s_mov_b32 s24, 0
	s_wait_loadcnt_dscnt 0x0
	flat_load_b32 v9, v[12:13] scope:SCOPE_SYS
	s_wait_loadcnt_dscnt 0x0
	global_inv scope:SCOPE_SYS
	v_cmp_eq_u32_e32 vcc_lo, 0, v9
	s_and_b32 s72, vcc_lo, exec_lo
	s_delay_alu instid0(SALU_CYCLE_1)
	s_or_b32 s43, s43, s72
	s_mov_b32 s73, -1
	s_or_b32 s21, s21, exec_lo
	s_and_saveexec_b32 s72, s43
	s_cbranch_execz .LBB4_228
.LBB4_232:                              ;   in Loop: Header=BB4_229 Depth=3
	s_sleep 1
	s_trap 2
	ds_load_b64 v[12:13], v0
	s_wait_dscnt 0x0
	s_and_not1_b32 s21, s21, exec_lo
	v_cmp_ge_u64_e32 vcc_lo, v[12:13], v[48:49]
	s_or_not1_b32 s73, vcc_lo, exec_lo
	s_branch .LBB4_228
.LBB4_233:                              ;   in Loop: Header=BB4_199 Depth=2
	s_and_not1_saveexec_b32 s13, s13
	s_cbranch_execz .LBB4_216
.LBB4_234:                              ;   in Loop: Header=BB4_199 Depth=2
	v_dual_mov_b32 v15, v2 :: v_dual_bitop2_b32 v14, 7, v114 bitop3:0x40
	s_or_b32 s18, s18, exec_lo
	s_or_b32 exec_lo, exec_lo, s13
	s_and_saveexec_b32 s13, s18
	s_cbranch_execnz .LBB4_217
	s_branch .LBB4_218
.LBB4_235:                              ;   in Loop: Header=BB4_199 Depth=2
	s_or_b32 exec_lo, exec_lo, s19
	s_and_saveexec_b32 s19, s20
	s_delay_alu instid0(SALU_CYCLE_1)
	s_xor_b32 s19, exec_lo, s19
	s_cbranch_execz .LBB4_237
; %bb.236:                              ;   in Loop: Header=BB4_199 Depth=2
	ds_store_b32 v0, v107
	s_trap 2
.LBB4_237:                              ;   in Loop: Header=BB4_199 Depth=2
	s_or_b32 exec_lo, exec_lo, s18
	;;#ASMSTART
	s_wakeup
	;;#ASMEND
.LBB4_238:                              ;   in Loop: Header=BB4_199 Depth=2
	s_or_b32 exec_lo, exec_lo, s17
.LBB4_239:                              ;   in Loop: Header=BB4_199 Depth=2
	s_and_not1_saveexec_b32 s16, s16
	s_cbranch_execz .LBB4_241
; %bb.240:                              ;   in Loop: Header=BB4_199 Depth=2
	global_wb scope:SCOPE_DEV
	s_wait_storecnt 0x0
	s_wait_loadcnt_dscnt 0x0
	global_inv scope:SCOPE_DEV
	s_barrier_signal -1
	s_barrier_wait -1
.LBB4_241:                              ;   in Loop: Header=BB4_199 Depth=2
	s_or_b32 exec_lo, exec_lo, s16
.LBB4_242:                              ;   in Loop: Header=BB4_199 Depth=2
	s_delay_alu instid0(SALU_CYCLE_1) | instskip(SKIP_1) | instid1(SALU_CYCLE_1)
	s_or_b32 exec_lo, exec_lo, s13
                                        ; implicit-def: $vgpr9
	s_and_saveexec_b32 s13, s12
	s_xor_b32 s16, exec_lo, s13
	s_cbranch_execz .LBB4_246
; %bb.243:                              ;   in Loop: Header=BB4_199 Depth=2
	s_trap 2
	ds_load_b32 v9, v0
	v_cmp_lt_i32_e32 vcc_lo, 0, v8
	s_wait_dscnt 0x0
	v_readfirstlane_b32 s13, v9
	v_and_b32_e32 v9, 16, v30
	s_cmp_eq_u32 s13, 0
	s_delay_alu instid0(VALU_DEP_1) | instskip(SKIP_3) | instid1(SALU_CYCLE_1)
	v_cmp_ne_u32_e64 s13, 0, v9
	s_cselect_b32 s17, -1, 0
	v_and_b32_e32 v9, 16, v30
	s_and_b32 s17, vcc_lo, s17
	s_and_b32 s17, s13, s17
	s_delay_alu instid0(SALU_CYCLE_1)
	s_and_saveexec_b32 s13, s17
	s_cbranch_execz .LBB4_245
; %bb.244:                              ;   in Loop: Header=BB4_199 Depth=2
	v_mov_b32_e32 v9, 1
	global_wb scope:SCOPE_SYS
	s_wait_loadcnt 0x0
	s_wait_storecnt 0x0
	global_inv scope:SCOPE_SYS
.LBB4_245:                              ;   in Loop: Header=BB4_199 Depth=2
	s_or_b32 exec_lo, exec_lo, s13
	s_and_not1_saveexec_b32 s13, s16
	s_cbranch_execz .LBB4_265
	s_branch .LBB4_247
.LBB4_246:                              ;   in Loop: Header=BB4_199 Depth=2
	s_and_not1_saveexec_b32 s13, s16
	s_cbranch_execz .LBB4_265
.LBB4_247:                              ;   in Loop: Header=BB4_199 Depth=2
	s_and_saveexec_b32 s16, s3
	s_delay_alu instid0(SALU_CYCLE_1)
	s_xor_b32 s16, exec_lo, s16
	s_cbranch_execz .LBB4_262
; %bb.248:                              ;   in Loop: Header=BB4_199 Depth=2
	s_and_saveexec_b32 s17, s6
	s_cbranch_execz .LBB4_261
; %bb.249:                              ;   in Loop: Header=BB4_199 Depth=2
	s_mov_b32 s19, exec_lo
	s_mov_b32 s18, exec_lo
	v_mbcnt_lo_u32_b32 v9, s19, 0
	;;#ASMSTART
	s_waitcnt lgkmcnt(0) vmcnt(0)
	;;#ASMEND
	s_delay_alu instid0(VALU_DEP_1)
	v_cmpx_eq_u32_e32 0, v9
	s_cbranch_execz .LBB4_251
; %bb.250:                              ;   in Loop: Header=BB4_199 Depth=2
	s_bcnt1_i32_b32 s19, s19
	s_delay_alu instid0(SALU_CYCLE_1)
	v_dual_mov_b32 v13, v2 :: v_dual_mov_b32 v12, s19
	s_wait_storecnt 0x0
	s_wait_loadcnt_dscnt 0x0
	ds_add_u64 v0, v[12:13]
	s_trap 2
.LBB4_251:                              ;   in Loop: Header=BB4_199 Depth=2
	s_or_b32 exec_lo, exec_lo, s18
	s_trap 2
	ds_load_b64 v[12:13], v0
	s_wait_dscnt 0x0
	v_add_nc_u64_e32 v[48:49], v[48:49], v[52:53]
	s_mov_b32 s18, exec_lo
	s_delay_alu instid0(VALU_DEP_1)
	v_cmpx_lt_u64_e64 v[12:13], v[48:49]
	s_cbranch_execz .LBB4_260
; %bb.252:                              ;   in Loop: Header=BB4_199 Depth=2
	s_mov_b32 s19, 0
	s_mov_b32 s24, 0
                                        ; implicit-def: $sgpr20
                                        ; implicit-def: $sgpr21
	s_branch .LBB4_254
.LBB4_253:                              ;   in Loop: Header=BB4_254 Depth=3
	s_or_b32 exec_lo, exec_lo, s72
	s_delay_alu instid0(SALU_CYCLE_1) | instskip(NEXT) | instid1(SALU_CYCLE_1)
	s_and_b32 s43, exec_lo, s73
	s_or_b32 s19, s43, s19
	s_and_not1_b32 s20, s20, exec_lo
	s_and_b32 s43, s21, exec_lo
	s_delay_alu instid0(SALU_CYCLE_1)
	s_or_b32 s20, s20, s43
	s_and_not1_b32 exec_lo, exec_lo, s19
	s_cbranch_execz .LBB4_258
.LBB4_254:                              ;   Parent Loop BB4_47 Depth=1
                                        ;     Parent Loop BB4_199 Depth=2
                                        ; =>    This Inner Loop Header: Depth=3
	s_add_co_i32 s24, s24, 1
	s_delay_alu instid0(SALU_CYCLE_1) | instskip(SKIP_1) | instid1(SALU_CYCLE_1)
	s_cmp_lg_u32 s24, 0x2710
	s_cselect_b32 s43, -1, 0
	s_and_b32 vcc_lo, exec_lo, s43
	s_cbranch_vccz .LBB4_256
; %bb.255:                              ;   in Loop: Header=BB4_254 Depth=3
	s_mov_b32 s73, -1
	s_or_b32 s21, s21, exec_lo
	s_and_saveexec_b32 s72, s43
	s_cbranch_execz .LBB4_253
	s_branch .LBB4_257
.LBB4_256:                              ;   in Loop: Header=BB4_254 Depth=3
	s_trap 2
	ds_load_b64 v[12:13], v0
	s_and_not1_b32 s43, s43, exec_lo
	s_mov_b32 s24, 0
	s_wait_storecnt 0x0
	s_wait_loadcnt_dscnt 0x0
	flat_load_b32 v9, v[12:13] scope:SCOPE_SYS
	s_wait_loadcnt_dscnt 0x0
	global_inv scope:SCOPE_SYS
	v_cmp_eq_u32_e32 vcc_lo, 0, v9
	s_and_b32 s72, vcc_lo, exec_lo
	s_delay_alu instid0(SALU_CYCLE_1)
	s_or_b32 s43, s43, s72
	s_mov_b32 s73, -1
	s_or_b32 s21, s21, exec_lo
	s_and_saveexec_b32 s72, s43
	s_cbranch_execz .LBB4_253
.LBB4_257:                              ;   in Loop: Header=BB4_254 Depth=3
	s_sleep 1
	s_trap 2
	ds_load_b64 v[12:13], v0
	s_wait_dscnt 0x0
	s_and_not1_b32 s21, s21, exec_lo
	v_cmp_ge_u64_e32 vcc_lo, v[12:13], v[48:49]
	s_or_not1_b32 s73, vcc_lo, exec_lo
	s_branch .LBB4_253
.LBB4_258:                              ;   in Loop: Header=BB4_199 Depth=2
	s_or_b32 exec_lo, exec_lo, s19
	s_and_saveexec_b32 s19, s20
	s_delay_alu instid0(SALU_CYCLE_1)
	s_xor_b32 s19, exec_lo, s19
	s_cbranch_execz .LBB4_260
; %bb.259:                              ;   in Loop: Header=BB4_199 Depth=2
	ds_store_b32 v0, v107
	s_trap 2
.LBB4_260:                              ;   in Loop: Header=BB4_199 Depth=2
	s_or_b32 exec_lo, exec_lo, s18
	;;#ASMSTART
	s_wakeup
	;;#ASMEND
.LBB4_261:                              ;   in Loop: Header=BB4_199 Depth=2
	s_or_b32 exec_lo, exec_lo, s17
.LBB4_262:                              ;   in Loop: Header=BB4_199 Depth=2
	s_and_not1_saveexec_b32 s16, s16
	s_cbranch_execz .LBB4_264
; %bb.263:                              ;   in Loop: Header=BB4_199 Depth=2
	;;#ASMSTART
	s_waitcnt lgkmcnt(0) vmcnt(0)
	;;#ASMEND
	s_barrier_signal -1
	s_barrier_wait -1
.LBB4_264:                              ;   in Loop: Header=BB4_199 Depth=2
	s_or_b32 exec_lo, exec_lo, s16
	v_and_b32_e32 v9, 16, v30
.LBB4_265:                              ;   in Loop: Header=BB4_199 Depth=2
	s_or_b32 exec_lo, exec_lo, s13
	s_delay_alu instid0(SALU_CYCLE_1) | instskip(NEXT) | instid1(VALU_DEP_1)
	s_mov_b32 s13, exec_lo
	v_cmpx_ne_u32_e32 0, v9
	s_cbranch_execz .LBB4_198
; %bb.266:                              ;   in Loop: Header=BB4_199 Depth=2
	s_and_saveexec_b32 s16, s5
	s_cbranch_execz .LBB4_197
; %bb.267:                              ;   in Loop: Header=BB4_199 Depth=2
	global_wb scope:SCOPE_SYS
	s_wait_storecnt 0x0
	s_wait_loadcnt_dscnt 0x0
	flat_store_b32 v[38:39], v107 scope:SCOPE_SYS
	s_branch .LBB4_197
.LBB4_268:                              ;   in Loop: Header=BB4_47 Depth=1
	s_or_b32 exec_lo, exec_lo, s15
.LBB4_269:                              ;   in Loop: Header=BB4_47 Depth=1
	s_delay_alu instid0(SALU_CYCLE_1) | instskip(NEXT) | instid1(SALU_CYCLE_1)
	s_or_b32 exec_lo, exec_lo, s14
	s_and_not1_b32 vcc_lo, exec_lo, s58
	s_cbranch_vccnz .LBB4_492
; %bb.270:                              ;   in Loop: Header=BB4_47 Depth=1
	s_mov_b32 s14, 2
	s_branch .LBB4_273
.LBB4_271:                              ;   in Loop: Header=BB4_273 Depth=2
	s_or_b32 exec_lo, exec_lo, s16
.LBB4_272:                              ;   in Loop: Header=BB4_273 Depth=2
	s_delay_alu instid0(SALU_CYCLE_1) | instskip(SKIP_1) | instid1(SALU_CYCLE_1)
	s_or_b32 exec_lo, exec_lo, s15
	s_add_co_i32 s14, s14, 1
	s_cmp_eq_u32 s14, s22
	s_cbranch_scc1 .LBB4_492
.LBB4_273:                              ;   Parent Loop BB4_47 Depth=1
                                        ; =>  This Loop Header: Depth=2
                                        ;       Child Loop BB4_276 Depth 3
                                        ;         Child Loop BB4_284 Depth 4
                                        ;         Child Loop BB4_312 Depth 4
	;; [unrolled: 1-line block ×9, first 2 shown]
                                        ;       Child Loop BB4_420 Depth 3
                                        ;         Child Loop BB4_426 Depth 4
                                        ;         Child Loop BB4_454 Depth 4
	;; [unrolled: 1-line block ×3, first 2 shown]
	s_sub_co_i32 s13, s56, s14
	v_mov_b32_e32 v10, 0
	s_cmp_ge_i32 s13, s22
	s_cselect_b32 s15, s22, 0
	s_delay_alu instid0(SALU_CYCLE_1) | instskip(NEXT) | instid1(SALU_CYCLE_1)
	s_sub_co_i32 s16, s13, s15
	s_ashr_i32 s17, s16, 31
	s_delay_alu instid0(SALU_CYCLE_1) | instskip(SKIP_1) | instid1(VALU_DEP_1)
	v_mul_u64_e32 v[12:13], s[16:17], v[112:113]
	s_mov_b32 s16, 0
	v_sub_nc_u64_e32 v[8:9], v[116:117], v[12:13]
	s_delay_alu instid0(VALU_DEP_1) | instskip(NEXT) | instid1(VALU_DEP_1)
	v_min_i64 v[8:9], v[112:113], v[8:9]
	v_max_i32_e32 v40, 0, v8
	v_cmp_lt_i32_e32 vcc_lo, 0, v8
	s_delay_alu instid0(VALU_DEP_2) | instskip(SKIP_1) | instid1(VALU_DEP_1)
	v_add_nc_u32_e32 v3, 31, v40
	s_and_b32 s13, s61, vcc_lo
	v_lshrrev_b32_e32 v3, 1, v3
	s_delay_alu instid0(VALU_DEP_1) | instskip(NEXT) | instid1(VALU_DEP_1)
	v_and_b32_e32 v9, 0x3ffffff0, v3
	v_dual_mov_b32 v3, 0 :: v_dual_max_i32 v8, s57, v9
	s_and_saveexec_b32 s15, s13
	s_cbranch_execz .LBB4_417
; %bb.274:                              ;   in Loop: Header=BB4_273 Depth=2
	v_mov_b32_e32 v10, 0
	s_mov_b32 s18, 1
	s_mov_b32 s17, -1
	s_branch .LBB4_276
.LBB4_275:                              ;   in Loop: Header=BB4_276 Depth=3
	s_wait_xcnt 0x0
	s_or_b32 exec_lo, exec_lo, s13
	v_dual_mov_b32 v3, s18 :: v_dual_add_nc_u32 v10, v8, v10
	s_xor_b32 s13, s17, -1
	s_mov_b32 s17, 0
	s_mov_b32 s18, 2
	s_delay_alu instid0(VALU_DEP_1) | instskip(SKIP_1) | instid1(SALU_CYCLE_1)
	v_cmp_ge_i32_e32 vcc_lo, v10, v40
	s_or_b32 s13, s13, vcc_lo
	s_and_b32 s13, exec_lo, s13
	s_delay_alu instid0(SALU_CYCLE_1) | instskip(NEXT) | instid1(SALU_CYCLE_1)
	s_or_b32 s16, s13, s16
	s_and_not1_b32 exec_lo, exec_lo, s16
	s_cbranch_execz .LBB4_416
.LBB4_276:                              ;   Parent Loop BB4_47 Depth=1
                                        ;     Parent Loop BB4_273 Depth=2
                                        ; =>    This Loop Header: Depth=3
                                        ;         Child Loop BB4_284 Depth 4
                                        ;         Child Loop BB4_312 Depth 4
	;; [unrolled: 1-line block ×9, first 2 shown]
	s_and_saveexec_b32 s13, s0
	s_cbranch_execz .LBB4_278
; %bb.277:                              ;   in Loop: Header=BB4_276 Depth=3
	s_trap 2
	ds_load_b64 v[14:15], v0
	v_ashrrev_i32_e32 v11, 31, v10
	s_wait_dscnt 0x0
	v_lshl_add_u64 v[14:15], v[118:119], 2, v[14:15]
	s_delay_alu instid0(VALU_DEP_1) | instskip(NEXT) | instid1(VALU_DEP_1)
	v_lshl_add_u64 v[14:15], v[12:13], 2, v[14:15]
	v_lshl_add_u64 v[14:15], v[10:11], 2, v[14:15]
	ds_store_b64 v0, v[14:15]
	ds_store_b64 v0, v[54:55]
.LBB4_278:                              ;   in Loop: Header=BB4_276 Depth=3
	s_or_b32 exec_lo, exec_lo, s13
	v_sub_nc_u32_e32 v3, v40, v10
	v_and_b32_e32 v9, 12, v30
	s_mov_b32 s19, exec_lo
	s_delay_alu instid0(VALU_DEP_2) | instskip(NEXT) | instid1(VALU_DEP_2)
	v_min_i32_e32 v8, v8, v3
	v_cmpx_ne_u32_e32 0, v9
	s_cbranch_execz .LBB4_304
; %bb.279:                              ;   in Loop: Header=BB4_276 Depth=3
	v_dual_mov_b32 v17, v2 :: v_dual_bitop2_b32 v16, 8, v30 bitop3:0x40
	v_add_nc_u64_e32 v[14:15], 2, v[114:115]
	s_mov_b32 s20, exec_lo
	s_wait_loadcnt_dscnt 0x1
	s_delay_alu instid0(VALU_DEP_2) | instskip(NEXT) | instid1(VALU_DEP_1)
	v_add_nc_u64_e32 v[18:19], v[50:51], v[16:17]
	v_cmpx_lt_u64_e64 v[18:19], v[14:15]
	s_cbranch_execz .LBB4_291
; %bb.280:                              ;   in Loop: Header=BB4_276 Depth=3
	v_and_b32_e32 v3, 64, v30
	s_mov_b32 s21, 0
	s_mov_b32 s73, 0
                                        ; implicit-def: $sgpr24
                                        ; implicit-def: $sgpr43
                                        ; implicit-def: $sgpr72
	s_delay_alu instid0(VALU_DEP_1)
	v_cmp_eq_u32_e32 vcc_lo, 0, v3
	s_branch .LBB4_284
.LBB4_281:                              ;   in Loop: Header=BB4_284 Depth=4
	s_wait_loadcnt_dscnt 0x0
	v_add_nc_u64_e32 v[18:19], v[50:51], v[16:17]
	s_or_b32 s76, s76, exec_lo
	s_delay_alu instid0(VALU_DEP_1)
	v_cmp_ge_u64_e64 s13, v[18:19], v[14:15]
	s_or_not1_b32 s75, s13, exec_lo
.LBB4_282:                              ;   in Loop: Header=BB4_284 Depth=4
	s_or_b32 exec_lo, exec_lo, s78
	s_delay_alu instid0(SALU_CYCLE_1)
	s_and_not1_b32 s13, s72, exec_lo
	s_and_b32 s72, s76, exec_lo
	s_and_not1_b32 s43, s43, exec_lo
	s_and_b32 s75, s75, exec_lo
	s_or_b32 s72, s13, s72
	s_or_b32 s43, s43, s75
.LBB4_283:                              ;   in Loop: Header=BB4_284 Depth=4
	s_or_b32 exec_lo, exec_lo, s74
	s_delay_alu instid0(SALU_CYCLE_1) | instskip(NEXT) | instid1(SALU_CYCLE_1)
	s_and_b32 s13, exec_lo, s43
	s_or_b32 s21, s13, s21
	s_and_not1_b32 s13, s24, exec_lo
	s_and_b32 s24, s72, exec_lo
	s_delay_alu instid0(SALU_CYCLE_1)
	s_or_b32 s24, s13, s24
	s_and_not1_b32 exec_lo, exec_lo, s21
	s_cbranch_execz .LBB4_288
.LBB4_284:                              ;   Parent Loop BB4_47 Depth=1
                                        ;     Parent Loop BB4_273 Depth=2
                                        ;       Parent Loop BB4_276 Depth=3
                                        ; =>      This Inner Loop Header: Depth=4
	s_sleep 1
	s_wait_loadcnt_dscnt 0x0
	flat_load_b64 v[50:51], v[32:33] scope:SCOPE_SYS
	s_or_b32 s72, s72, exec_lo
	s_or_b32 s43, s43, exec_lo
                                        ; implicit-def: $vgpr3
	s_wait_xcnt 0x0
	s_and_saveexec_b32 s74, vcc_lo
	s_cbranch_execz .LBB4_283
; %bb.285:                              ;   in Loop: Header=BB4_284 Depth=4
	s_cmp_lt_i32 s73, 0x270f
	s_mov_b32 s75, -1
	s_cselect_b32 s77, -1, 0
	s_cmp_gt_i32 s73, 0x270e
	s_cbranch_scc0 .LBB4_287
; %bb.286:                              ;   in Loop: Header=BB4_284 Depth=4
	s_trap 2
	ds_load_b64 v[18:19], v0
	s_and_not1_b32 s73, s77, exec_lo
	s_mov_b32 s76, 0
	s_wait_storecnt 0x0
	s_wait_loadcnt_dscnt 0x0
	flat_load_b32 v3, v[18:19] scope:SCOPE_SYS
	s_wait_loadcnt_dscnt 0x0
	global_inv scope:SCOPE_SYS
	v_cmp_eq_u32_e64 s13, 0, v3
	s_and_b32 s13, s13, exec_lo
	s_delay_alu instid0(SALU_CYCLE_1)
	s_or_b32 s77, s73, s13
	s_mov_b32 s73, 0
	s_and_saveexec_b32 s78, s77
	s_cbranch_execz .LBB4_282
	s_branch .LBB4_281
.LBB4_287:                              ;   in Loop: Header=BB4_284 Depth=4
	s_add_co_i32 s73, s73, 1
	s_mov_b32 s76, -1
                                        ; implicit-def: $vgpr3
	s_and_saveexec_b32 s78, s77
	s_cbranch_execz .LBB4_282
	s_branch .LBB4_281
.LBB4_288:                              ;   in Loop: Header=BB4_276 Depth=3
	s_or_b32 exec_lo, exec_lo, s21
	s_xor_b32 s13, s24, -1
	s_delay_alu instid0(SALU_CYCLE_1) | instskip(NEXT) | instid1(SALU_CYCLE_1)
	s_and_saveexec_b32 s21, s13
	s_xor_b32 s13, exec_lo, s21
	s_cbranch_execz .LBB4_290
; %bb.289:                              ;   in Loop: Header=BB4_276 Depth=3
	v_or_b32_e32 v30, 64, v30
	s_wait_storecnt 0x0
	s_wait_loadcnt_dscnt 0x0
	ds_store_b32 v0, v3
	s_trap 2
.LBB4_290:                              ;   in Loop: Header=BB4_276 Depth=3
	s_or_b32 exec_lo, exec_lo, s13
.LBB4_291:                              ;   in Loop: Header=BB4_276 Depth=3
	s_delay_alu instid0(SALU_CYCLE_1) | instskip(SKIP_3) | instid1(VALU_DEP_1)
	s_or_b32 exec_lo, exec_lo, s20
	v_and_b32_e32 v3, 0x108, v30
	s_mov_b32 s13, exec_lo
	;;#ASMSTART
	s_wakeup
	;;#ASMEND
                                        ; implicit-def: $vgpr18_vgpr19
	v_cmpx_ne_u32_e32 0x108, v3
	s_xor_b32 s13, exec_lo, s13
; %bb.292:                              ;   in Loop: Header=BB4_276 Depth=3
	v_dual_mov_b32 v19, v2 :: v_dual_bitop2_b32 v18, 7, v114 bitop3:0x40
                                        ; implicit-def: $vgpr114_vgpr115
; %bb.293:                              ;   in Loop: Header=BB4_276 Depth=3
	s_and_not1_saveexec_b32 s13, s13
	s_cbranch_execz .LBB4_295
; %bb.294:                              ;   in Loop: Header=BB4_276 Depth=3
	v_dual_ashrrev_i32 v9, 31, v8 :: v_dual_bitop2_b32 v18, 7, v114 bitop3:0x40
	v_mov_b32_e32 v19, v2
	s_delay_alu instid0(VALU_DEP_2) | instskip(NEXT) | instid1(VALU_DEP_3)
	v_mad_nc_u64_u32 v[20:21], v18, 24, v[6:7]
	v_lshlrev_b64_e32 v[22:23], 2, v[8:9]
	flat_store_b64 v[20:21], v[22:23] offset:8
.LBB4_295:                              ;   in Loop: Header=BB4_276 Depth=3
	s_wait_xcnt 0x0
	s_or_b32 exec_lo, exec_lo, s13
	v_and_b32_e32 v3, 0x100, v30
	s_mov_b32 s13, -1
	s_mov_b32 s20, exec_lo
                                        ; implicit-def: $vgpr20_vgpr21
	s_delay_alu instid0(VALU_DEP_1)
	v_cmpx_ne_u32_e32 0, v3
	s_cbranch_execz .LBB4_299
; %bb.296:                              ;   in Loop: Header=BB4_276 Depth=3
	v_mad_nc_u64_u32 v[22:23], v18, 24, v[6:7]
	s_mov_b32 s21, exec_lo
                                        ; implicit-def: $vgpr20_vgpr21
	s_delay_alu instid0(VALU_DEP_1)
	v_mad_u32 v23, v19, 24, v23
	flat_load_b32 v3, v[22:23]
	s_wait_loadcnt_dscnt 0x0
	v_cmp_ne_u32_e32 vcc_lo, 1, v3
	s_wait_xcnt 0x0
	v_cmpx_eq_u32_e32 1, v3
	s_cbranch_execz .LBB4_298
; %bb.297:                              ;   in Loop: Header=BB4_276 Depth=3
	flat_load_b32 v20, v[22:23] offset:4 scope:SCOPE_SYS
	s_wait_loadcnt_dscnt 0x0
	v_ashrrev_i32_e32 v21, 31, v20
	s_delay_alu instid0(VALU_DEP_1)
	v_lshrrev_b64 v[20:21], 2, v[20:21]
.LBB4_298:                              ;   in Loop: Header=BB4_276 Depth=3
	s_wait_xcnt 0x0
	s_or_b32 exec_lo, exec_lo, s21
	s_delay_alu instid0(SALU_CYCLE_1)
	s_or_not1_b32 s13, vcc_lo, exec_lo
.LBB4_299:                              ;   in Loop: Header=BB4_276 Depth=3
	s_or_b32 exec_lo, exec_lo, s20
	s_and_saveexec_b32 s20, s13
; %bb.300:                              ;   in Loop: Header=BB4_276 Depth=3
	v_mul_u64_e32 v[20:21], v[18:19], v[34:35]
; %bb.301:                              ;   in Loop: Header=BB4_276 Depth=3
	s_or_b32 exec_lo, exec_lo, s20
	v_cmp_eq_u32_e32 vcc_lo, 0, v16
	v_and_b32_e32 v9, 0x2000, v30
	s_delay_alu instid0(VALU_DEP_3) | instskip(SKIP_2) | instid1(VALU_DEP_1)
	v_lshl_add_u64 v[16:17], v[20:21], 2, v[36:37]
	s_mov_b32 s13, exec_lo
	v_cndmask_b32_e32 v3, 0xc8, v108, vcc_lo
	v_add_nc_u32_e32 v3, v0, v3
	ds_store_b64 v3, v[16:17] offset:584
	v_cmpx_ne_u32_e32 0, v9
	s_cbranch_execz .LBB4_303
; %bb.302:                              ;   in Loop: Header=BB4_276 Depth=3
	ds_load_b64 v[16:17], v0 offset:872
	s_wait_dscnt 0x0
	v_add_nc_u64_e32 v[16:17], 1, v[16:17]
	ds_store_b64 v0, v[16:17] offset:872
.LBB4_303:                              ;   in Loop: Header=BB4_276 Depth=3
	s_or_b32 exec_lo, exec_lo, s13
	v_mov_b64_e32 v[114:115], v[14:15]
.LBB4_304:                              ;   in Loop: Header=BB4_276 Depth=3
	s_or_b32 exec_lo, exec_lo, s19
	s_and_saveexec_b32 s13, s2
	s_cbranch_execz .LBB4_323
; %bb.305:                              ;   in Loop: Header=BB4_276 Depth=3
	s_and_saveexec_b32 s19, s3
	s_delay_alu instid0(SALU_CYCLE_1)
	s_xor_b32 s19, exec_lo, s19
	s_cbranch_execz .LBB4_320
; %bb.306:                              ;   in Loop: Header=BB4_276 Depth=3
	s_and_saveexec_b32 s20, s6
	s_cbranch_execz .LBB4_319
; %bb.307:                              ;   in Loop: Header=BB4_276 Depth=3
	s_mov_b32 s24, exec_lo
	s_mov_b32 s21, exec_lo
	v_mbcnt_lo_u32_b32 v3, s24, 0
	global_wb scope:SCOPE_DEV
	s_wait_storecnt 0x0
	s_wait_loadcnt_dscnt 0x0
	global_inv scope:SCOPE_DEV
	v_cmpx_eq_u32_e32 0, v3
	s_cbranch_execz .LBB4_309
; %bb.308:                              ;   in Loop: Header=BB4_276 Depth=3
	s_bcnt1_i32_b32 s24, s24
	s_delay_alu instid0(SALU_CYCLE_1)
	v_dual_mov_b32 v15, v2 :: v_dual_mov_b32 v14, s24
	s_wait_loadcnt 0x0
	ds_add_u64 v0, v[14:15]
	s_trap 2
.LBB4_309:                              ;   in Loop: Header=BB4_276 Depth=3
	s_or_b32 exec_lo, exec_lo, s21
	s_trap 2
	ds_load_b64 v[14:15], v0
	s_wait_dscnt 0x0
	v_add_nc_u64_e32 v[48:49], v[48:49], v[52:53]
	s_mov_b32 s21, exec_lo
	s_delay_alu instid0(VALU_DEP_1)
	v_cmpx_lt_u64_e64 v[14:15], v[48:49]
	s_cbranch_execz .LBB4_318
; %bb.310:                              ;   in Loop: Header=BB4_276 Depth=3
	s_mov_b32 s24, 0
	s_mov_b32 s73, 0
                                        ; implicit-def: $sgpr43
                                        ; implicit-def: $sgpr72
	s_branch .LBB4_312
.LBB4_311:                              ;   in Loop: Header=BB4_312 Depth=4
	s_or_b32 exec_lo, exec_lo, s75
	s_delay_alu instid0(SALU_CYCLE_1) | instskip(NEXT) | instid1(SALU_CYCLE_1)
	s_and_b32 s74, exec_lo, s76
	s_or_b32 s24, s74, s24
	s_and_not1_b32 s43, s43, exec_lo
	s_and_b32 s74, s72, exec_lo
	s_delay_alu instid0(SALU_CYCLE_1)
	s_or_b32 s43, s43, s74
	s_and_not1_b32 exec_lo, exec_lo, s24
	s_cbranch_execz .LBB4_316
.LBB4_312:                              ;   Parent Loop BB4_47 Depth=1
                                        ;     Parent Loop BB4_273 Depth=2
                                        ;       Parent Loop BB4_276 Depth=3
                                        ; =>      This Inner Loop Header: Depth=4
	s_add_co_i32 s73, s73, 1
	s_delay_alu instid0(SALU_CYCLE_1) | instskip(SKIP_1) | instid1(SALU_CYCLE_1)
	s_cmp_lg_u32 s73, 0x2710
	s_cselect_b32 s74, -1, 0
	s_and_b32 vcc_lo, exec_lo, s74
	s_cbranch_vccz .LBB4_314
; %bb.313:                              ;   in Loop: Header=BB4_312 Depth=4
	s_mov_b32 s76, -1
	s_or_b32 s72, s72, exec_lo
	s_and_saveexec_b32 s75, s74
	s_cbranch_execz .LBB4_311
	s_branch .LBB4_315
.LBB4_314:                              ;   in Loop: Header=BB4_312 Depth=4
	s_trap 2
	ds_load_b64 v[14:15], v0
	s_and_not1_b32 s74, s74, exec_lo
	s_mov_b32 s73, 0
	s_wait_loadcnt_dscnt 0x0
	flat_load_b32 v3, v[14:15] scope:SCOPE_SYS
	s_wait_loadcnt_dscnt 0x0
	global_inv scope:SCOPE_SYS
	v_cmp_eq_u32_e32 vcc_lo, 0, v3
	s_and_b32 s75, vcc_lo, exec_lo
	s_delay_alu instid0(SALU_CYCLE_1)
	s_or_b32 s74, s74, s75
	s_mov_b32 s76, -1
	s_or_b32 s72, s72, exec_lo
	s_and_saveexec_b32 s75, s74
	s_cbranch_execz .LBB4_311
.LBB4_315:                              ;   in Loop: Header=BB4_312 Depth=4
	s_sleep 1
	s_trap 2
	ds_load_b64 v[14:15], v0
	s_wait_dscnt 0x0
	s_and_not1_b32 s72, s72, exec_lo
	v_cmp_ge_u64_e32 vcc_lo, v[14:15], v[48:49]
	s_or_not1_b32 s76, vcc_lo, exec_lo
	s_branch .LBB4_311
.LBB4_316:                              ;   in Loop: Header=BB4_276 Depth=3
	s_or_b32 exec_lo, exec_lo, s24
	s_and_saveexec_b32 s24, s43
	s_delay_alu instid0(SALU_CYCLE_1)
	s_xor_b32 s24, exec_lo, s24
	s_cbranch_execz .LBB4_318
; %bb.317:                              ;   in Loop: Header=BB4_276 Depth=3
	ds_store_b32 v0, v107
	s_trap 2
.LBB4_318:                              ;   in Loop: Header=BB4_276 Depth=3
	s_or_b32 exec_lo, exec_lo, s21
	;;#ASMSTART
	s_wakeup
	;;#ASMEND
.LBB4_319:                              ;   in Loop: Header=BB4_276 Depth=3
	s_or_b32 exec_lo, exec_lo, s20
.LBB4_320:                              ;   in Loop: Header=BB4_276 Depth=3
	s_and_not1_saveexec_b32 s19, s19
	s_cbranch_execz .LBB4_322
; %bb.321:                              ;   in Loop: Header=BB4_276 Depth=3
	global_wb scope:SCOPE_DEV
	s_wait_storecnt 0x0
	s_wait_loadcnt_dscnt 0x0
	global_inv scope:SCOPE_DEV
	s_barrier_signal -1
	s_barrier_wait -1
.LBB4_322:                              ;   in Loop: Header=BB4_276 Depth=3
	s_or_b32 exec_lo, exec_lo, s19
.LBB4_323:                              ;   in Loop: Header=BB4_276 Depth=3
	s_delay_alu instid0(SALU_CYCLE_1) | instskip(SKIP_4) | instid1(VALU_DEP_1)
	s_or_b32 exec_lo, exec_lo, s13
	s_trap 2
	ds_load_b32 v3, v0
	v_and_b32_e32 v9, 0x4000, v30
	s_xor_b32 s13, s1, -1
	v_cmp_ne_u32_e32 vcc_lo, 0, v9
	s_and_b32 s19, s13, vcc_lo
	s_delay_alu instid0(SALU_CYCLE_1)
	s_and_saveexec_b32 s13, s19
	s_cbranch_execz .LBB4_342
; %bb.324:                              ;   in Loop: Header=BB4_276 Depth=3
	s_and_saveexec_b32 s19, s3
	s_delay_alu instid0(SALU_CYCLE_1)
	s_xor_b32 s19, exec_lo, s19
	s_cbranch_execz .LBB4_339
; %bb.325:                              ;   in Loop: Header=BB4_276 Depth=3
	s_and_saveexec_b32 s20, s6
	s_cbranch_execz .LBB4_338
; %bb.326:                              ;   in Loop: Header=BB4_276 Depth=3
	s_mov_b32 s24, exec_lo
	s_mov_b32 s21, exec_lo
	v_mbcnt_lo_u32_b32 v9, s24, 0
	global_wb scope:SCOPE_DEV
	s_wait_storecnt 0x0
	s_wait_loadcnt_dscnt 0x0
	global_inv scope:SCOPE_DEV
	v_cmpx_eq_u32_e32 0, v9
	s_cbranch_execz .LBB4_328
; %bb.327:                              ;   in Loop: Header=BB4_276 Depth=3
	s_bcnt1_i32_b32 s24, s24
	s_delay_alu instid0(SALU_CYCLE_1)
	v_dual_mov_b32 v15, v2 :: v_dual_mov_b32 v14, s24
	s_wait_loadcnt 0x0
	ds_add_u64 v0, v[14:15]
	s_trap 2
.LBB4_328:                              ;   in Loop: Header=BB4_276 Depth=3
	s_or_b32 exec_lo, exec_lo, s21
	s_trap 2
	ds_load_b64 v[14:15], v0
	s_wait_dscnt 0x0
	v_add_nc_u64_e32 v[48:49], v[48:49], v[52:53]
	s_mov_b32 s21, exec_lo
	s_delay_alu instid0(VALU_DEP_1)
	v_cmpx_lt_u64_e64 v[14:15], v[48:49]
	s_cbranch_execz .LBB4_337
; %bb.329:                              ;   in Loop: Header=BB4_276 Depth=3
	s_mov_b32 s24, 0
	s_mov_b32 s73, 0
                                        ; implicit-def: $sgpr43
                                        ; implicit-def: $sgpr72
	s_branch .LBB4_331
.LBB4_330:                              ;   in Loop: Header=BB4_331 Depth=4
	s_or_b32 exec_lo, exec_lo, s75
	s_delay_alu instid0(SALU_CYCLE_1) | instskip(NEXT) | instid1(SALU_CYCLE_1)
	s_and_b32 s74, exec_lo, s76
	s_or_b32 s24, s74, s24
	s_and_not1_b32 s43, s43, exec_lo
	s_and_b32 s74, s72, exec_lo
	s_delay_alu instid0(SALU_CYCLE_1)
	s_or_b32 s43, s43, s74
	s_and_not1_b32 exec_lo, exec_lo, s24
	s_cbranch_execz .LBB4_335
.LBB4_331:                              ;   Parent Loop BB4_47 Depth=1
                                        ;     Parent Loop BB4_273 Depth=2
                                        ;       Parent Loop BB4_276 Depth=3
                                        ; =>      This Inner Loop Header: Depth=4
	s_add_co_i32 s73, s73, 1
	s_delay_alu instid0(SALU_CYCLE_1) | instskip(SKIP_1) | instid1(SALU_CYCLE_1)
	s_cmp_lg_u32 s73, 0x2710
	s_cselect_b32 s74, -1, 0
	s_and_b32 vcc_lo, exec_lo, s74
	s_cbranch_vccz .LBB4_333
; %bb.332:                              ;   in Loop: Header=BB4_331 Depth=4
	s_mov_b32 s76, -1
	s_or_b32 s72, s72, exec_lo
	s_and_saveexec_b32 s75, s74
	s_cbranch_execz .LBB4_330
	s_branch .LBB4_334
.LBB4_333:                              ;   in Loop: Header=BB4_331 Depth=4
	s_trap 2
	ds_load_b64 v[14:15], v0
	s_and_not1_b32 s74, s74, exec_lo
	s_mov_b32 s73, 0
	s_wait_loadcnt_dscnt 0x0
	flat_load_b32 v9, v[14:15] scope:SCOPE_SYS
	s_wait_loadcnt_dscnt 0x0
	global_inv scope:SCOPE_SYS
	v_cmp_eq_u32_e32 vcc_lo, 0, v9
	s_and_b32 s75, vcc_lo, exec_lo
	s_delay_alu instid0(SALU_CYCLE_1)
	s_or_b32 s74, s74, s75
	s_mov_b32 s76, -1
	s_or_b32 s72, s72, exec_lo
	s_and_saveexec_b32 s75, s74
	s_cbranch_execz .LBB4_330
.LBB4_334:                              ;   in Loop: Header=BB4_331 Depth=4
	s_sleep 1
	s_trap 2
	ds_load_b64 v[14:15], v0
	s_wait_dscnt 0x0
	s_and_not1_b32 s72, s72, exec_lo
	v_cmp_ge_u64_e32 vcc_lo, v[14:15], v[48:49]
	s_or_not1_b32 s76, vcc_lo, exec_lo
	s_branch .LBB4_330
.LBB4_335:                              ;   in Loop: Header=BB4_276 Depth=3
	s_or_b32 exec_lo, exec_lo, s24
	s_and_saveexec_b32 s24, s43
	s_delay_alu instid0(SALU_CYCLE_1)
	s_xor_b32 s24, exec_lo, s24
	s_cbranch_execz .LBB4_337
; %bb.336:                              ;   in Loop: Header=BB4_276 Depth=3
	ds_store_b32 v0, v107
	s_trap 2
.LBB4_337:                              ;   in Loop: Header=BB4_276 Depth=3
	s_or_b32 exec_lo, exec_lo, s21
	;;#ASMSTART
	s_wakeup
	;;#ASMEND
.LBB4_338:                              ;   in Loop: Header=BB4_276 Depth=3
	s_or_b32 exec_lo, exec_lo, s20
.LBB4_339:                              ;   in Loop: Header=BB4_276 Depth=3
	s_and_not1_saveexec_b32 s19, s19
	s_cbranch_execz .LBB4_341
; %bb.340:                              ;   in Loop: Header=BB4_276 Depth=3
	global_wb scope:SCOPE_DEV
	s_wait_storecnt 0x0
	s_wait_loadcnt_dscnt 0x0
	global_inv scope:SCOPE_DEV
	s_barrier_signal -1
	s_barrier_wait -1
.LBB4_341:                              ;   in Loop: Header=BB4_276 Depth=3
	s_or_b32 exec_lo, exec_lo, s19
.LBB4_342:                              ;   in Loop: Header=BB4_276 Depth=3
	s_delay_alu instid0(SALU_CYCLE_1)
	s_or_b32 exec_lo, exec_lo, s13
	s_trap 2
	ds_load_b64 v[14:15], v0
	s_wait_dscnt 0x0
	v_cmp_eq_u64_e32 vcc_lo, 0, v[14:15]
	s_cbranch_vccnz .LBB4_350
; %bb.343:                              ;   in Loop: Header=BB4_276 Depth=3
	s_trap 2
	ds_load_b64 v[16:17], v0
	s_wait_dscnt 0x0
	v_cmp_eq_u64_e32 vcc_lo, 0, v[16:17]
	s_cbranch_vccnz .LBB4_350
; %bb.344:                              ;   in Loop: Header=BB4_276 Depth=3
	s_mov_b32 s13, -1
	s_and_saveexec_b32 s19, s11
	s_cbranch_execz .LBB4_346
; %bb.345:                              ;   in Loop: Header=BB4_276 Depth=3
	ds_load_b32 v9, v0 offset:720
	s_wait_dscnt 0x0
	v_and_b32_e32 v9, 15, v9
	s_delay_alu instid0(VALU_DEP_1)
	v_cmp_eq_u32_e32 vcc_lo, 0, v9
	s_or_not1_b32 s13, vcc_lo, exec_lo
.LBB4_346:                              ;   in Loop: Header=BB4_276 Depth=3
	s_or_b32 exec_lo, exec_lo, s19
	s_and_saveexec_b32 s19, s10
	s_cbranch_execz .LBB4_348
; %bb.347:                              ;   in Loop: Header=BB4_276 Depth=3
	ds_load_b32 v9, v0 offset:784
	s_wait_dscnt 0x0
	v_and_b32_e32 v9, 15, v9
	s_delay_alu instid0(VALU_DEP_1) | instskip(SKIP_3) | instid1(SALU_CYCLE_1)
	v_cmp_eq_u32_e32 vcc_lo, 0, v9
	s_and_b32 s20, s13, vcc_lo
	s_and_not1_b32 s13, s13, exec_lo
	s_and_b32 s20, s20, exec_lo
	s_or_b32 s13, s13, s20
.LBB4_348:                              ;   in Loop: Header=BB4_276 Depth=3
	s_or_b32 exec_lo, exec_lo, s19
	v_cmp_eq_u32_e32 vcc_lo, 0, v3
	s_xor_b32 s13, s13, -1
	s_mov_b32 s20, -1
	v_cndmask_b32_e64 v11, 0, 1, s13
	v_dual_mov_b32 v3, 0 :: v_dual_cndmask_b32 v9, 0, v8, vcc_lo
	s_delay_alu instid0(VALU_DEP_2) | instskip(NEXT) | instid1(VALU_DEP_2)
	v_cmp_ne_u32_e32 vcc_lo, 0, v11
	v_lshlrev_b32_e32 v11, 2, v9
	s_cbranch_vccz .LBB4_355
; %bb.349:                              ;   in Loop: Header=BB4_276 Depth=3
	v_mov_b32_e32 v41, v0
	s_and_saveexec_b32 s13, s20
	s_cbranch_execnz .LBB4_366
	s_branch .LBB4_374
.LBB4_350:                              ;   in Loop: Header=BB4_276 Depth=3
	s_mov_b32 s13, 0
	s_and_saveexec_b32 s19, s2
	s_cbranch_execnz .LBB4_375
.LBB4_351:                              ;   in Loop: Header=BB4_276 Depth=3
	s_or_b32 exec_lo, exec_lo, s19
                                        ; implicit-def: $vgpr3
	s_and_saveexec_b32 s19, s12
	s_delay_alu instid0(SALU_CYCLE_1)
	s_xor_b32 s19, exec_lo, s19
	s_cbranch_execz .LBB4_393
.LBB4_352:                              ;   in Loop: Header=BB4_276 Depth=3
	v_and_b32_e32 v3, 16, v30
	s_delay_alu instid0(VALU_DEP_1) | instskip(SKIP_2) | instid1(SALU_CYCLE_1)
	v_cmp_ne_u32_e32 vcc_lo, 0, v3
	v_and_b32_e32 v3, 16, v30
	s_and_b32 s20, vcc_lo, s13
	s_and_saveexec_b32 s13, s20
	s_cbranch_execz .LBB4_354
; %bb.353:                              ;   in Loop: Header=BB4_276 Depth=3
	v_mov_b32_e32 v3, 1
	global_wb scope:SCOPE_SYS
	s_wait_storecnt 0x0
	s_wait_loadcnt_dscnt 0x0
	global_inv scope:SCOPE_SYS
.LBB4_354:                              ;   in Loop: Header=BB4_276 Depth=3
	s_or_b32 exec_lo, exec_lo, s13
	s_and_not1_saveexec_b32 s13, s19
	s_cbranch_execz .LBB4_412
	s_branch .LBB4_394
.LBB4_355:                              ;   in Loop: Header=BB4_276 Depth=3
	s_delay_alu instid0(VALU_DEP_1) | instskip(SKIP_1) | instid1(VALU_DEP_1)
	v_ashrrev_i32_e32 v3, 31, v11
	s_mov_b32 s13, exec_lo
	v_lshrrev_b32_e32 v3, 22, v3
	s_delay_alu instid0(VALU_DEP_1) | instskip(NEXT) | instid1(VALU_DEP_1)
	v_add_nc_u32_e32 v3, v11, v3
	v_ashrrev_i32_e32 v41, 10, v3
	s_delay_alu instid0(VALU_DEP_1) | instskip(NEXT) | instid1(VALU_DEP_1)
	v_sub_nc_u32_e32 v43, v41, v106
	v_cmpx_lt_i32_e32 0, v43
	s_cbranch_execz .LBB4_359
; %bb.356:                              ;   in Loop: Header=BB4_276 Depth=3
	s_trap 2
	ds_load_b64 v[20:21], v0
	v_add_nc_u64_e32 v[18:19], v[14:15], v[80:81]
	v_add_nc_u64_e32 v[22:23], v[16:17], v[80:81]
	s_mov_b32 s19, 0
	s_wait_dscnt 0x0
	v_add_nc_u64_e32 v[20:21], v[20:21], v[80:81]
.LBB4_357:                              ;   Parent Loop BB4_47 Depth=1
                                        ;     Parent Loop BB4_273 Depth=2
                                        ;       Parent Loop BB4_276 Depth=3
                                        ; =>      This Inner Loop Header: Depth=4
	global_load_b128 v[44:47], v[20:21], off th:TH_LOAD_NT
	global_load_b128 v[56:59], v[18:19], off th:TH_LOAD_NT
	global_load_b128 v[60:63], v[20:21], off offset:512 th:TH_LOAD_NT
	global_load_b128 v[72:75], v[18:19], off offset:512 th:TH_LOAD_NT
	s_wait_xcnt 0x0
	v_add_nc_u64_e32 v[18:19], v[18:19], v[82:83]
	v_add_nc_u64_e32 v[20:21], v[20:21], v[82:83]
	v_sub_nc_u32_e32 v43, v43, v52
	s_delay_alu instid0(VALU_DEP_1) | instskip(SKIP_4) | instid1(VALU_DEP_2)
	v_cmp_gt_i32_e32 vcc_lo, 1, v43
	s_or_b32 s19, vcc_lo, s19
	s_wait_loadcnt 0x2
	v_dual_mov_b32 v3, v45 :: v_dual_add_nc_u32 v44, v44, v56
	v_add_nc_u32_e32 v46, v46, v58
	v_add_nc_u64_e32 v[26:27], v[2:3], v[56:57]
	s_wait_loadcnt 0x0
	v_dual_mov_b32 v3, v47 :: v_dual_add_nc_u32 v56, v60, v72
	s_delay_alu instid0(VALU_DEP_1) | instskip(NEXT) | instid1(VALU_DEP_3)
	v_add_nc_u64_e32 v[76:77], v[2:3], v[58:59]
	v_dual_mov_b32 v3, v61 :: v_dual_mov_b32 v45, v27
	s_delay_alu instid0(VALU_DEP_1) | instskip(NEXT) | instid1(VALU_DEP_3)
	v_add_nc_u64_e32 v[78:79], v[2:3], v[72:73]
	v_dual_mov_b32 v3, v63 :: v_dual_mov_b32 v47, v77
	s_delay_alu instid0(VALU_DEP_1) | instskip(NEXT) | instid1(VALU_DEP_3)
	v_add_nc_u64_e32 v[58:59], v[2:3], v[74:75]
	v_dual_mov_b32 v57, v79 :: v_dual_add_nc_u32 v58, v62, v74
	s_clause 0x1
	global_store_b128 v[22:23], v[44:47], off th:TH_STORE_NT
	global_store_b128 v[22:23], v[56:59], off offset:512 th:TH_STORE_NT
	s_wait_xcnt 0x0
	v_add_nc_u64_e32 v[22:23], v[22:23], v[82:83]
	s_and_not1_b32 exec_lo, exec_lo, s19
	s_cbranch_execnz .LBB4_357
; %bb.358:                              ;   in Loop: Header=BB4_276 Depth=3
	s_or_b32 exec_lo, exec_lo, s19
.LBB4_359:                              ;   in Loop: Header=BB4_276 Depth=3
	s_delay_alu instid0(SALU_CYCLE_1) | instskip(SKIP_3) | instid1(VALU_DEP_1)
	s_or_b32 exec_lo, exec_lo, s13
	v_dual_mov_b32 v3, 0 :: v_dual_lshlrev_b32 v42, 10, v41
	s_mov_b32 s20, 0
	s_mov_b32 s19, exec_lo
                                        ; implicit-def: $vgpr41
	v_cmpx_ne_u32_e64 v11, v42
	s_cbranch_execz .LBB4_365
; %bb.360:                              ;   in Loop: Header=BB4_276 Depth=3
	v_dual_lshlrev_b32 v3, 5, v43 :: v_dual_sub_nc_u32 v19, v11, v42
	s_mov_b32 s20, exec_lo
	s_delay_alu instid0(VALU_DEP_1) | instskip(NEXT) | instid1(VALU_DEP_2)
	v_sub_nc_u32_e32 v3, v105, v3
	v_ashrrev_i32_e32 v20, 31, v19
	s_delay_alu instid0(VALU_DEP_1) | instskip(NEXT) | instid1(VALU_DEP_1)
	v_dual_ashrrev_i32 v18, 31, v3 :: v_dual_lshrrev_b32 v20, 23, v20
	v_lshrrev_b32_e32 v18, 27, v18
	s_delay_alu instid0(VALU_DEP_1) | instskip(NEXT) | instid1(VALU_DEP_3)
	v_add_nc_u32_e32 v18, v3, v18
	v_add_nc_u32_e32 v20, v19, v20
	s_delay_alu instid0(VALU_DEP_2) | instskip(SKIP_1) | instid1(VALU_DEP_3)
	v_and_b32_e32 v21, 0xffffffe0, v18
	v_ashrrev_i32_e32 v18, 5, v18
	v_and_b32_e32 v43, 0xfffffe00, v20
	s_delay_alu instid0(VALU_DEP_3) | instskip(NEXT) | instid1(VALU_DEP_1)
	v_dual_ashrrev_i32 v20, 9, v20 :: v_dual_sub_nc_u32 v41, v3, v21
	v_dual_sub_nc_u32 v44, v19, v43 :: v_dual_lshlrev_b32 v3, 4, v41
	s_delay_alu instid0(VALU_DEP_1) | instskip(NEXT) | instid1(VALU_DEP_2)
	v_cmp_lt_i32_e32 vcc_lo, 15, v44
	v_lshl_add_u32 v3, v18, 9, v3
	s_delay_alu instid0(VALU_DEP_4) | instskip(NEXT) | instid1(VALU_DEP_1)
	v_add_co_ci_u32_e64 v20, null, 0, v20, vcc_lo
	v_dual_sub_nc_u32 v46, v19, v3 :: v_dual_sub_nc_u32 v45, v20, v18
	s_delay_alu instid0(VALU_DEP_1)
	v_cmpx_lt_i32_e32 15, v46
	s_cbranch_execz .LBB4_364
; %bb.361:                              ;   in Loop: Header=BB4_276 Depth=3
	s_trap 2
	ds_load_b64 v[20:21], v0
	v_add_nc_u32_e32 v22, v3, v42
	s_mov_b32 s21, 0
	s_delay_alu instid0(VALU_DEP_1) | instskip(NEXT) | instid1(VALU_DEP_1)
	v_ashrrev_i32_e32 v23, 31, v22
	v_add_nc_u64_e32 v[18:19], v[22:23], v[14:15]
	s_wait_dscnt 0x0
	v_add_nc_u64_e32 v[20:21], v[20:21], v[22:23]
	v_add_nc_u64_e32 v[22:23], v[22:23], v[16:17]
.LBB4_362:                              ;   Parent Loop BB4_47 Depth=1
                                        ;     Parent Loop BB4_273 Depth=2
                                        ;       Parent Loop BB4_276 Depth=3
                                        ; =>      This Inner Loop Header: Depth=4
	global_load_b128 v[56:59], v[20:21], off th:TH_LOAD_NT
	global_load_b128 v[60:63], v[18:19], off th:TH_LOAD_NT
	v_mov_b32_e32 v26, v2
	s_wait_xcnt 0x0
	v_add_nc_u64_e32 v[18:19], v[18:19], v[68:69]
	v_add_nc_u64_e32 v[20:21], v[20:21], v[68:69]
	v_sub_nc_u32_e32 v45, v45, v52
	v_sub_nc_u32_e32 v46, v46, v68
	s_delay_alu instid0(VALU_DEP_1)
	v_cmp_gt_i32_e64 s13, 16, v46
	s_or_b32 s21, s13, s21
	s_wait_loadcnt 0x1
	v_dual_mov_b32 v3, v57 :: v_dual_mov_b32 v27, v59
	s_wait_loadcnt 0x0
	v_dual_add_nc_u32 v56, v56, v60 :: v_dual_add_nc_u32 v58, v58, v62
	s_delay_alu instid0(VALU_DEP_2) | instskip(NEXT) | instid1(VALU_DEP_3)
	v_add_nc_u64_e32 v[72:73], v[2:3], v[60:61]
	v_add_nc_u64_e32 v[26:27], v[26:27], v[62:63]
	s_delay_alu instid0(VALU_DEP_1)
	v_dual_mov_b32 v57, v73 :: v_dual_mov_b32 v59, v27
	global_store_b128 v[22:23], v[56:59], off th:TH_STORE_NT
	s_wait_xcnt 0x0
	v_add_nc_u64_e32 v[22:23], v[22:23], v[68:69]
	s_and_not1_b32 exec_lo, exec_lo, s21
	s_cbranch_execnz .LBB4_362
; %bb.363:                              ;   in Loop: Header=BB4_276 Depth=3
	s_or_b32 exec_lo, exec_lo, s21
.LBB4_364:                              ;   in Loop: Header=BB4_276 Depth=3
	s_delay_alu instid0(SALU_CYCLE_1) | instskip(NEXT) | instid1(VALU_DEP_2)
	s_or_b32 exec_lo, exec_lo, s20
	v_cmp_lt_i32_e64 s13, 0, v45
	s_delay_alu instid0(VALU_DEP_1) | instskip(NEXT) | instid1(VALU_DEP_1)
	v_dual_cndmask_b32 v19, 0, v52, s13 :: v_dual_bitop2_b32 v3, 12, v11 bitop3:0x40
	v_dual_cndmask_b32 v11, v44, v3 :: v_dual_sub_nc_u32 v18, v44, v3
	s_delay_alu instid0(VALU_DEP_1) | instskip(NEXT) | instid1(VALU_DEP_2)
	v_dual_cndmask_b32 v3, 0, v18 :: v_dual_sub_nc_u32 v18, v19, v45
	v_cmp_ne_u32_e32 vcc_lo, 0, v11
	s_delay_alu instid0(VALU_DEP_2) | instskip(NEXT) | instid1(VALU_DEP_3)
	v_add3_u32 v3, v43, v42, v3
	v_lshl_add_u32 v41, v18, 5, v41
	s_and_b32 s20, vcc_lo, exec_lo
.LBB4_365:                              ;   in Loop: Header=BB4_276 Depth=3
	s_or_b32 exec_lo, exec_lo, s19
	s_and_saveexec_b32 s13, s20
	s_cbranch_execz .LBB4_374
.LBB4_366:                              ;   in Loop: Header=BB4_276 Depth=3
	s_delay_alu instid0(VALU_DEP_1) | instskip(SKIP_1) | instid1(VALU_DEP_1)
	v_dual_ashrrev_i32 v18, 31, v41 :: v_dual_ashrrev_i32 v19, 31, v11
	s_mov_b32 s19, exec_lo
	v_dual_lshrrev_b32 v18, 27, v18 :: v_dual_lshrrev_b32 v19, 23, v19
	s_delay_alu instid0(VALU_DEP_1) | instskip(NEXT) | instid1(VALU_DEP_1)
	v_dual_add_nc_u32 v18, v41, v18 :: v_dual_add_nc_u32 v19, v11, v19
	v_dual_ashrrev_i32 v42, 5, v18 :: v_dual_ashrrev_i32 v44, 9, v19
	s_delay_alu instid0(VALU_DEP_1) | instskip(NEXT) | instid1(VALU_DEP_1)
	v_sub_nc_u32_e32 v43, v44, v42
	v_cmpx_lt_i32_e32 0, v43
	s_cbranch_execz .LBB4_370
; %bb.367:                              ;   in Loop: Header=BB4_276 Depth=3
	v_and_b32_e32 v18, 0x3fffffe0, v18
	s_trap 2
	ds_load_b64 v[20:21], v0
	v_lshlrev_b32_e32 v19, 9, v42
	s_mov_b32 s20, 0
	v_sub_nc_u32_e32 v18, v41, v18
	s_delay_alu instid0(VALU_DEP_1) | instskip(NEXT) | instid1(VALU_DEP_1)
	v_lshlrev_b32_e32 v18, 2, v18
	v_add3_u32 v22, v18, v3, v19
	s_delay_alu instid0(VALU_DEP_1) | instskip(NEXT) | instid1(VALU_DEP_1)
	v_ashrrev_i32_e32 v23, 31, v22
	v_add_nc_u64_e32 v[18:19], v[22:23], v[14:15]
	s_wait_dscnt 0x0
	v_add_nc_u64_e32 v[20:21], v[20:21], v[22:23]
	v_add_nc_u64_e32 v[22:23], v[22:23], v[16:17]
.LBB4_368:                              ;   Parent Loop BB4_47 Depth=1
                                        ;     Parent Loop BB4_273 Depth=2
                                        ;       Parent Loop BB4_276 Depth=3
                                        ; =>      This Inner Loop Header: Depth=4
	s_clause 0x3
	flat_load_b32 v26, v[18:19] th:TH_LOAD_NT
	flat_load_b32 v27, v[18:19] offset:128 th:TH_LOAD_NT
	flat_load_b32 v45, v[18:19] offset:256 th:TH_LOAD_NT
	;; [unrolled: 1-line block ×3, first 2 shown]
	s_clause 0x3
	flat_load_b32 v47, v[20:21] th:TH_LOAD_NT
	flat_load_b32 v56, v[20:21] offset:128 th:TH_LOAD_NT
	flat_load_b32 v57, v[20:21] offset:256 th:TH_LOAD_NT
	;; [unrolled: 1-line block ×3, first 2 shown]
	v_sub_nc_u32_e32 v43, v43, v52
	s_wait_xcnt 0x4
	v_add_nc_u64_e32 v[18:19], v[18:19], v[68:69]
	s_wait_xcnt 0x0
	v_add_nc_u64_e32 v[20:21], v[20:21], v[68:69]
	s_wait_loadcnt_dscnt 0x202
	v_dual_add_nc_u32 v26, v47, v26 :: v_dual_add_nc_u32 v27, v56, v27
	s_wait_loadcnt_dscnt 0x0
	v_dual_add_nc_u32 v45, v57, v45 :: v_dual_add_nc_u32 v46, v58, v46
	v_cmp_gt_i32_e32 vcc_lo, 1, v43
	s_clause 0x3
	flat_store_b32 v[22:23], v26 th:TH_STORE_NT
	flat_store_b32 v[22:23], v27 offset:128 th:TH_STORE_NT
	flat_store_b32 v[22:23], v45 offset:256 th:TH_STORE_NT
	;; [unrolled: 1-line block ×3, first 2 shown]
	s_wait_xcnt 0x0
	v_add_nc_u64_e32 v[22:23], v[22:23], v[68:69]
	s_or_b32 s20, vcc_lo, s20
	s_delay_alu instid0(SALU_CYCLE_1)
	s_and_not1_b32 exec_lo, exec_lo, s20
	s_cbranch_execnz .LBB4_368
; %bb.369:                              ;   in Loop: Header=BB4_276 Depth=3
	s_or_b32 exec_lo, exec_lo, s20
.LBB4_370:                              ;   in Loop: Header=BB4_276 Depth=3
	s_delay_alu instid0(SALU_CYCLE_1) | instskip(SKIP_1) | instid1(VALU_DEP_1)
	s_or_b32 exec_lo, exec_lo, s19
	v_lshlrev_b32_e32 v18, 9, v44
	v_cmp_ne_u32_e32 vcc_lo, v11, v18
	s_and_b32 exec_lo, exec_lo, vcc_lo
	s_cbranch_execz .LBB4_374
; %bb.371:                              ;   in Loop: Header=BB4_276 Depth=3
	v_dual_lshlrev_b32 v19, 5, v42 :: v_dual_lshlrev_b32 v20, 5, v43
	s_delay_alu instid0(VALU_DEP_1) | instskip(NEXT) | instid1(VALU_DEP_1)
	v_sub_nc_u32_e32 v19, v41, v19
	v_sub_nc_u32_e32 v19, v19, v20
	s_delay_alu instid0(VALU_DEP_1) | instskip(NEXT) | instid1(VALU_DEP_1)
	v_ashrrev_i32_e32 v20, 31, v19
	v_lshrrev_b32_e32 v20, 27, v20
	s_delay_alu instid0(VALU_DEP_1) | instskip(NEXT) | instid1(VALU_DEP_1)
	v_add_nc_u32_e32 v20, v19, v20
	v_and_b32_e32 v21, 0x3fffffe0, v20
	s_delay_alu instid0(VALU_DEP_1) | instskip(NEXT) | instid1(VALU_DEP_1)
	v_dual_lshlrev_b32 v20, 2, v20 :: v_dual_sub_nc_u32 v19, v19, v21
	v_and_b32_e32 v20, 0xffffff80, v20
	s_delay_alu instid0(VALU_DEP_2) | instskip(NEXT) | instid1(VALU_DEP_1)
	v_lshlrev_b32_e32 v19, 2, v19
	v_add3_u32 v18, v20, v19, v18
	s_delay_alu instid0(VALU_DEP_1) | instskip(NEXT) | instid1(VALU_DEP_1)
	v_sub_nc_u32_e32 v11, v11, v18
	v_cmp_lt_i32_e32 vcc_lo, 3, v11
	s_and_b32 exec_lo, exec_lo, vcc_lo
	s_cbranch_execz .LBB4_374
; %bb.372:                              ;   in Loop: Header=BB4_276 Depth=3
	s_trap 2
	ds_load_b64 v[20:21], v0
	v_add_nc_u32_e32 v22, v18, v3
	s_mov_b32 s19, 0
	s_delay_alu instid0(VALU_DEP_1) | instskip(NEXT) | instid1(VALU_DEP_1)
	v_ashrrev_i32_e32 v23, 31, v22
	v_add_nc_u64_e32 v[14:15], v[22:23], v[14:15]
	v_add_nc_u64_e32 v[16:17], v[22:23], v[16:17]
	s_wait_dscnt 0x0
	v_add_nc_u64_e32 v[18:19], v[20:21], v[22:23]
.LBB4_373:                              ;   Parent Loop BB4_47 Depth=1
                                        ;     Parent Loop BB4_273 Depth=2
                                        ;       Parent Loop BB4_276 Depth=3
                                        ; =>      This Inner Loop Header: Depth=4
	flat_load_b32 v3, v[14:15] th:TH_LOAD_NT
	flat_load_b32 v20, v[18:19] th:TH_LOAD_NT
	v_sub_nc_u32_e32 v11, v11, v70
	s_wait_xcnt 0x1
	v_add_nc_u64_e32 v[14:15], v[14:15], v[70:71]
	s_wait_xcnt 0x0
	v_add_nc_u64_e32 v[18:19], v[18:19], v[70:71]
	s_wait_loadcnt_dscnt 0x0
	v_add_nc_u32_e32 v3, v20, v3
	v_cmp_gt_i32_e32 vcc_lo, 4, v11
	flat_store_b32 v[16:17], v3 th:TH_STORE_NT
	s_wait_xcnt 0x0
	v_add_nc_u64_e32 v[16:17], v[16:17], v[70:71]
	s_or_b32 s19, vcc_lo, s19
	s_delay_alu instid0(SALU_CYCLE_1)
	s_and_not1_b32 exec_lo, exec_lo, s19
	s_cbranch_execnz .LBB4_373
.LBB4_374:                              ;   in Loop: Header=BB4_276 Depth=3
	s_or_b32 exec_lo, exec_lo, s13
	v_cmp_lt_i32_e64 s13, 0, v9
	s_and_saveexec_b32 s19, s2
	s_cbranch_execz .LBB4_351
.LBB4_375:                              ;   in Loop: Header=BB4_276 Depth=3
	s_and_saveexec_b32 s20, s3
	s_delay_alu instid0(SALU_CYCLE_1)
	s_xor_b32 s20, exec_lo, s20
	s_cbranch_execz .LBB4_390
; %bb.376:                              ;   in Loop: Header=BB4_276 Depth=3
	s_and_saveexec_b32 s21, s6
	s_cbranch_execz .LBB4_389
; %bb.377:                              ;   in Loop: Header=BB4_276 Depth=3
	s_mov_b32 s43, exec_lo
	s_mov_b32 s24, exec_lo
	v_mbcnt_lo_u32_b32 v3, s43, 0
	global_wb scope:SCOPE_DEV
	s_wait_storecnt 0x0
	s_wait_loadcnt_dscnt 0x0
	global_inv scope:SCOPE_DEV
	v_cmpx_eq_u32_e32 0, v3
	s_cbranch_execz .LBB4_379
; %bb.378:                              ;   in Loop: Header=BB4_276 Depth=3
	s_bcnt1_i32_b32 s43, s43
	s_delay_alu instid0(SALU_CYCLE_1)
	v_dual_mov_b32 v15, v2 :: v_dual_mov_b32 v14, s43
	s_wait_loadcnt 0x0
	ds_add_u64 v0, v[14:15]
	s_trap 2
.LBB4_379:                              ;   in Loop: Header=BB4_276 Depth=3
	s_or_b32 exec_lo, exec_lo, s24
	s_trap 2
	ds_load_b64 v[14:15], v0
	s_wait_dscnt 0x0
	v_add_nc_u64_e32 v[48:49], v[48:49], v[52:53]
	s_mov_b32 s24, exec_lo
	s_delay_alu instid0(VALU_DEP_1)
	v_cmpx_lt_u64_e64 v[14:15], v[48:49]
	s_cbranch_execz .LBB4_388
; %bb.380:                              ;   in Loop: Header=BB4_276 Depth=3
	s_mov_b32 s43, 0
	s_mov_b32 s74, 0
                                        ; implicit-def: $sgpr72
                                        ; implicit-def: $sgpr73
	s_branch .LBB4_382
.LBB4_381:                              ;   in Loop: Header=BB4_382 Depth=4
	s_or_b32 exec_lo, exec_lo, s76
	s_delay_alu instid0(SALU_CYCLE_1) | instskip(NEXT) | instid1(SALU_CYCLE_1)
	s_and_b32 s75, exec_lo, s77
	s_or_b32 s43, s75, s43
	s_and_not1_b32 s72, s72, exec_lo
	s_and_b32 s75, s73, exec_lo
	s_delay_alu instid0(SALU_CYCLE_1)
	s_or_b32 s72, s72, s75
	s_and_not1_b32 exec_lo, exec_lo, s43
	s_cbranch_execz .LBB4_386
.LBB4_382:                              ;   Parent Loop BB4_47 Depth=1
                                        ;     Parent Loop BB4_273 Depth=2
                                        ;       Parent Loop BB4_276 Depth=3
                                        ; =>      This Inner Loop Header: Depth=4
	s_add_co_i32 s74, s74, 1
	s_delay_alu instid0(SALU_CYCLE_1) | instskip(SKIP_1) | instid1(SALU_CYCLE_1)
	s_cmp_lg_u32 s74, 0x2710
	s_cselect_b32 s75, -1, 0
	s_and_b32 vcc_lo, exec_lo, s75
	s_cbranch_vccz .LBB4_384
; %bb.383:                              ;   in Loop: Header=BB4_382 Depth=4
	s_mov_b32 s77, -1
	s_or_b32 s73, s73, exec_lo
	s_and_saveexec_b32 s76, s75
	s_cbranch_execz .LBB4_381
	s_branch .LBB4_385
.LBB4_384:                              ;   in Loop: Header=BB4_382 Depth=4
	s_trap 2
	ds_load_b64 v[14:15], v0
	s_and_not1_b32 s75, s75, exec_lo
	s_mov_b32 s74, 0
	s_wait_loadcnt_dscnt 0x0
	flat_load_b32 v3, v[14:15] scope:SCOPE_SYS
	s_wait_loadcnt_dscnt 0x0
	global_inv scope:SCOPE_SYS
	v_cmp_eq_u32_e32 vcc_lo, 0, v3
	s_and_b32 s76, vcc_lo, exec_lo
	s_delay_alu instid0(SALU_CYCLE_1)
	s_or_b32 s75, s75, s76
	s_mov_b32 s77, -1
	s_or_b32 s73, s73, exec_lo
	s_and_saveexec_b32 s76, s75
	s_cbranch_execz .LBB4_381
.LBB4_385:                              ;   in Loop: Header=BB4_382 Depth=4
	s_sleep 1
	s_trap 2
	ds_load_b64 v[14:15], v0
	s_wait_dscnt 0x0
	s_and_not1_b32 s73, s73, exec_lo
	v_cmp_ge_u64_e32 vcc_lo, v[14:15], v[48:49]
	s_or_not1_b32 s77, vcc_lo, exec_lo
	s_branch .LBB4_381
.LBB4_386:                              ;   in Loop: Header=BB4_276 Depth=3
	s_or_b32 exec_lo, exec_lo, s43
	s_and_saveexec_b32 s43, s72
	s_delay_alu instid0(SALU_CYCLE_1)
	s_xor_b32 s43, exec_lo, s43
	s_cbranch_execz .LBB4_388
; %bb.387:                              ;   in Loop: Header=BB4_276 Depth=3
	ds_store_b32 v0, v107
	s_trap 2
.LBB4_388:                              ;   in Loop: Header=BB4_276 Depth=3
	s_or_b32 exec_lo, exec_lo, s24
	;;#ASMSTART
	s_wakeup
	;;#ASMEND
.LBB4_389:                              ;   in Loop: Header=BB4_276 Depth=3
	s_or_b32 exec_lo, exec_lo, s21
.LBB4_390:                              ;   in Loop: Header=BB4_276 Depth=3
	s_and_not1_saveexec_b32 s20, s20
	s_cbranch_execz .LBB4_392
; %bb.391:                              ;   in Loop: Header=BB4_276 Depth=3
	global_wb scope:SCOPE_DEV
	s_wait_storecnt 0x0
	s_wait_loadcnt_dscnt 0x0
	global_inv scope:SCOPE_DEV
	s_barrier_signal -1
	s_barrier_wait -1
.LBB4_392:                              ;   in Loop: Header=BB4_276 Depth=3
	s_or_b32 exec_lo, exec_lo, s20
	s_delay_alu instid0(SALU_CYCLE_1) | instskip(SKIP_1) | instid1(SALU_CYCLE_1)
	s_or_b32 exec_lo, exec_lo, s19
                                        ; implicit-def: $vgpr3
	s_and_saveexec_b32 s19, s12
	s_xor_b32 s19, exec_lo, s19
	s_cbranch_execnz .LBB4_352
.LBB4_393:                              ;   in Loop: Header=BB4_276 Depth=3
	s_and_not1_saveexec_b32 s13, s19
	s_cbranch_execz .LBB4_412
.LBB4_394:                              ;   in Loop: Header=BB4_276 Depth=3
	s_and_saveexec_b32 s19, s3
	s_delay_alu instid0(SALU_CYCLE_1)
	s_xor_b32 s19, exec_lo, s19
	s_cbranch_execz .LBB4_409
; %bb.395:                              ;   in Loop: Header=BB4_276 Depth=3
	s_and_saveexec_b32 s20, s6
	s_cbranch_execz .LBB4_408
; %bb.396:                              ;   in Loop: Header=BB4_276 Depth=3
	s_mov_b32 s24, exec_lo
	s_mov_b32 s21, exec_lo
	v_mbcnt_lo_u32_b32 v3, s24, 0
	;;#ASMSTART
	s_waitcnt lgkmcnt(0) vmcnt(0)
	;;#ASMEND
	s_delay_alu instid0(VALU_DEP_1)
	v_cmpx_eq_u32_e32 0, v3
	s_cbranch_execz .LBB4_398
; %bb.397:                              ;   in Loop: Header=BB4_276 Depth=3
	s_bcnt1_i32_b32 s24, s24
	s_delay_alu instid0(SALU_CYCLE_1)
	v_dual_mov_b32 v15, v2 :: v_dual_mov_b32 v14, s24
	s_wait_storecnt 0x0
	s_wait_loadcnt_dscnt 0x0
	ds_add_u64 v0, v[14:15]
	s_trap 2
.LBB4_398:                              ;   in Loop: Header=BB4_276 Depth=3
	s_or_b32 exec_lo, exec_lo, s21
	s_trap 2
	ds_load_b64 v[14:15], v0
	s_wait_dscnt 0x0
	v_add_nc_u64_e32 v[48:49], v[48:49], v[52:53]
	s_mov_b32 s21, exec_lo
	s_delay_alu instid0(VALU_DEP_1)
	v_cmpx_lt_u64_e64 v[14:15], v[48:49]
	s_cbranch_execz .LBB4_407
; %bb.399:                              ;   in Loop: Header=BB4_276 Depth=3
	s_mov_b32 s24, 0
	s_mov_b32 s73, 0
                                        ; implicit-def: $sgpr43
                                        ; implicit-def: $sgpr72
	s_branch .LBB4_401
.LBB4_400:                              ;   in Loop: Header=BB4_401 Depth=4
	s_or_b32 exec_lo, exec_lo, s75
	s_delay_alu instid0(SALU_CYCLE_1) | instskip(NEXT) | instid1(SALU_CYCLE_1)
	s_and_b32 s74, exec_lo, s76
	s_or_b32 s24, s74, s24
	s_and_not1_b32 s43, s43, exec_lo
	s_and_b32 s74, s72, exec_lo
	s_delay_alu instid0(SALU_CYCLE_1)
	s_or_b32 s43, s43, s74
	s_and_not1_b32 exec_lo, exec_lo, s24
	s_cbranch_execz .LBB4_405
.LBB4_401:                              ;   Parent Loop BB4_47 Depth=1
                                        ;     Parent Loop BB4_273 Depth=2
                                        ;       Parent Loop BB4_276 Depth=3
                                        ; =>      This Inner Loop Header: Depth=4
	s_add_co_i32 s73, s73, 1
	s_delay_alu instid0(SALU_CYCLE_1) | instskip(SKIP_1) | instid1(SALU_CYCLE_1)
	s_cmp_lg_u32 s73, 0x2710
	s_cselect_b32 s74, -1, 0
	s_and_b32 vcc_lo, exec_lo, s74
	s_cbranch_vccz .LBB4_403
; %bb.402:                              ;   in Loop: Header=BB4_401 Depth=4
	s_mov_b32 s76, -1
	s_or_b32 s72, s72, exec_lo
	s_and_saveexec_b32 s75, s74
	s_cbranch_execz .LBB4_400
	s_branch .LBB4_404
.LBB4_403:                              ;   in Loop: Header=BB4_401 Depth=4
	s_trap 2
	ds_load_b64 v[14:15], v0
	s_and_not1_b32 s74, s74, exec_lo
	s_mov_b32 s73, 0
	s_wait_storecnt 0x0
	s_wait_loadcnt_dscnt 0x0
	flat_load_b32 v3, v[14:15] scope:SCOPE_SYS
	s_wait_loadcnt_dscnt 0x0
	global_inv scope:SCOPE_SYS
	v_cmp_eq_u32_e32 vcc_lo, 0, v3
	s_and_b32 s75, vcc_lo, exec_lo
	s_delay_alu instid0(SALU_CYCLE_1)
	s_or_b32 s74, s74, s75
	s_mov_b32 s76, -1
	s_or_b32 s72, s72, exec_lo
	s_and_saveexec_b32 s75, s74
	s_cbranch_execz .LBB4_400
.LBB4_404:                              ;   in Loop: Header=BB4_401 Depth=4
	s_sleep 1
	s_trap 2
	ds_load_b64 v[14:15], v0
	s_wait_dscnt 0x0
	s_and_not1_b32 s72, s72, exec_lo
	v_cmp_ge_u64_e32 vcc_lo, v[14:15], v[48:49]
	s_or_not1_b32 s76, vcc_lo, exec_lo
	s_branch .LBB4_400
.LBB4_405:                              ;   in Loop: Header=BB4_276 Depth=3
	s_or_b32 exec_lo, exec_lo, s24
	s_and_saveexec_b32 s24, s43
	s_delay_alu instid0(SALU_CYCLE_1)
	s_xor_b32 s24, exec_lo, s24
	s_cbranch_execz .LBB4_407
; %bb.406:                              ;   in Loop: Header=BB4_276 Depth=3
	ds_store_b32 v0, v107
	s_trap 2
.LBB4_407:                              ;   in Loop: Header=BB4_276 Depth=3
	s_or_b32 exec_lo, exec_lo, s21
	;;#ASMSTART
	s_wakeup
	;;#ASMEND
.LBB4_408:                              ;   in Loop: Header=BB4_276 Depth=3
	s_or_b32 exec_lo, exec_lo, s20
.LBB4_409:                              ;   in Loop: Header=BB4_276 Depth=3
	s_and_not1_saveexec_b32 s19, s19
	s_cbranch_execz .LBB4_411
; %bb.410:                              ;   in Loop: Header=BB4_276 Depth=3
	;;#ASMSTART
	s_waitcnt lgkmcnt(0) vmcnt(0)
	;;#ASMEND
	s_barrier_signal -1
	s_barrier_wait -1
.LBB4_411:                              ;   in Loop: Header=BB4_276 Depth=3
	s_or_b32 exec_lo, exec_lo, s19
	v_and_b32_e32 v3, 16, v30
.LBB4_412:                              ;   in Loop: Header=BB4_276 Depth=3
	s_or_b32 exec_lo, exec_lo, s13
	s_delay_alu instid0(VALU_DEP_1) | instskip(SKIP_1) | instid1(SALU_CYCLE_1)
	v_cmp_ne_u32_e32 vcc_lo, 0, v3
	s_xor_b32 s13, s4, -1
	s_and_b32 s19, vcc_lo, s13
	s_delay_alu instid0(SALU_CYCLE_1)
	s_and_saveexec_b32 s13, s19
	s_cbranch_execz .LBB4_414
; %bb.413:                              ;   in Loop: Header=BB4_276 Depth=3
	global_wb scope:SCOPE_SYS
	s_wait_storecnt 0x0
	s_wait_loadcnt_dscnt 0x0
	flat_store_b32 v[38:39], v107 scope:SCOPE_SYS
.LBB4_414:                              ;   in Loop: Header=BB4_276 Depth=3
	s_wait_xcnt 0x0
	s_or_b32 exec_lo, exec_lo, s13
	v_and_b32_e32 v3, 48, v30
	s_mov_b32 s13, exec_lo
	s_delay_alu instid0(VALU_DEP_1)
	v_cmpx_ne_u32_e32 0, v3
	s_cbranch_execz .LBB4_275
; %bb.415:                              ;   in Loop: Header=BB4_276 Depth=3
	v_add_nc_u64_e32 v[114:115], 2, v[114:115]
	global_wb scope:SCOPE_SYS
	s_wait_storecnt 0x0
	s_wait_loadcnt_dscnt 0x0
	flat_store_b64 v[32:33], v[114:115] scope:SCOPE_SYS
	s_branch .LBB4_275
.LBB4_416:                              ;   in Loop: Header=BB4_273 Depth=2
	s_or_b32 exec_lo, exec_lo, s16
.LBB4_417:                              ;   in Loop: Header=BB4_273 Depth=2
	s_delay_alu instid0(SALU_CYCLE_1) | instskip(NEXT) | instid1(SALU_CYCLE_1)
	s_or_b32 exec_lo, exec_lo, s15
	s_mov_b32 s15, exec_lo
	v_cmpx_gt_i32_e32 2, v3
	s_cbranch_execz .LBB4_272
; %bb.418:                              ;   in Loop: Header=BB4_273 Depth=2
	v_cmp_eq_u32_e64 s17, 0, v3
	s_mov_b32 s16, 0
	s_branch .LBB4_420
.LBB4_419:                              ;   in Loop: Header=BB4_420 Depth=3
	s_wait_xcnt 0x0
	s_or_b32 exec_lo, exec_lo, s13
	v_add_nc_u32_e32 v10, v8, v10
	s_mov_b32 s17, 0
	s_and_not1_b32 exec_lo, exec_lo, s16
	s_cbranch_execz .LBB4_271
.LBB4_420:                              ;   Parent Loop BB4_47 Depth=1
                                        ;     Parent Loop BB4_273 Depth=2
                                        ; =>    This Loop Header: Depth=3
                                        ;         Child Loop BB4_426 Depth 4
                                        ;         Child Loop BB4_454 Depth 4
	;; [unrolled: 1-line block ×3, first 2 shown]
	s_delay_alu instid0(VALU_DEP_1) | instskip(SKIP_2) | instid1(VALU_DEP_2)
	v_sub_nc_u32_e32 v3, v40, v10
	v_and_b32_e32 v9, 12, v30
	s_mov_b32 s18, exec_lo
	v_min_i32_e32 v8, v8, v3
	s_delay_alu instid0(VALU_DEP_2)
	v_cmpx_ne_u32_e32 0, v9
	s_cbranch_execz .LBB4_446
; %bb.421:                              ;   in Loop: Header=BB4_420 Depth=3
	v_dual_mov_b32 v15, v2 :: v_dual_bitop2_b32 v14, 8, v30 bitop3:0x40
	v_add_nc_u64_e32 v[12:13], 2, v[114:115]
	s_mov_b32 s19, exec_lo
	s_wait_loadcnt_dscnt 0x1
	s_delay_alu instid0(VALU_DEP_2) | instskip(NEXT) | instid1(VALU_DEP_1)
	v_add_nc_u64_e32 v[16:17], v[50:51], v[14:15]
	v_cmpx_lt_u64_e64 v[16:17], v[12:13]
	s_cbranch_execz .LBB4_433
; %bb.422:                              ;   in Loop: Header=BB4_420 Depth=3
	v_and_b32_e32 v3, 64, v30
	s_mov_b32 s20, 0
	s_mov_b32 s72, 0
                                        ; implicit-def: $sgpr21
                                        ; implicit-def: $sgpr24
                                        ; implicit-def: $sgpr43
	s_delay_alu instid0(VALU_DEP_1)
	v_cmp_eq_u32_e32 vcc_lo, 0, v3
	s_branch .LBB4_426
.LBB4_423:                              ;   in Loop: Header=BB4_426 Depth=4
	s_wait_loadcnt_dscnt 0x0
	v_add_nc_u64_e32 v[16:17], v[50:51], v[14:15]
	s_or_b32 s75, s75, exec_lo
	s_delay_alu instid0(VALU_DEP_1)
	v_cmp_ge_u64_e64 s13, v[16:17], v[12:13]
	s_or_not1_b32 s74, s13, exec_lo
.LBB4_424:                              ;   in Loop: Header=BB4_426 Depth=4
	s_or_b32 exec_lo, exec_lo, s77
	s_delay_alu instid0(SALU_CYCLE_1)
	s_and_not1_b32 s13, s43, exec_lo
	s_and_b32 s43, s75, exec_lo
	s_and_not1_b32 s24, s24, exec_lo
	s_and_b32 s74, s74, exec_lo
	s_or_b32 s43, s13, s43
	s_or_b32 s24, s24, s74
.LBB4_425:                              ;   in Loop: Header=BB4_426 Depth=4
	s_or_b32 exec_lo, exec_lo, s73
	s_delay_alu instid0(SALU_CYCLE_1) | instskip(NEXT) | instid1(SALU_CYCLE_1)
	s_and_b32 s13, exec_lo, s24
	s_or_b32 s20, s13, s20
	s_and_not1_b32 s13, s21, exec_lo
	s_and_b32 s21, s43, exec_lo
	s_delay_alu instid0(SALU_CYCLE_1)
	s_or_b32 s21, s13, s21
	s_and_not1_b32 exec_lo, exec_lo, s20
	s_cbranch_execz .LBB4_430
.LBB4_426:                              ;   Parent Loop BB4_47 Depth=1
                                        ;     Parent Loop BB4_273 Depth=2
                                        ;       Parent Loop BB4_420 Depth=3
                                        ; =>      This Inner Loop Header: Depth=4
	s_sleep 1
	s_wait_loadcnt_dscnt 0x0
	flat_load_b64 v[50:51], v[32:33] scope:SCOPE_SYS
	s_or_b32 s43, s43, exec_lo
	s_or_b32 s24, s24, exec_lo
                                        ; implicit-def: $vgpr3
	s_wait_xcnt 0x0
	s_and_saveexec_b32 s73, vcc_lo
	s_cbranch_execz .LBB4_425
; %bb.427:                              ;   in Loop: Header=BB4_426 Depth=4
	s_cmp_lt_i32 s72, 0x270f
	s_mov_b32 s74, -1
	s_cselect_b32 s76, -1, 0
	s_cmp_gt_i32 s72, 0x270e
	s_cbranch_scc0 .LBB4_429
; %bb.428:                              ;   in Loop: Header=BB4_426 Depth=4
	s_trap 2
	ds_load_b64 v[16:17], v0
	s_and_not1_b32 s72, s76, exec_lo
	s_mov_b32 s75, 0
	s_wait_storecnt 0x0
	s_wait_loadcnt_dscnt 0x0
	flat_load_b32 v3, v[16:17] scope:SCOPE_SYS
	s_wait_loadcnt_dscnt 0x0
	global_inv scope:SCOPE_SYS
	v_cmp_eq_u32_e64 s13, 0, v3
	s_and_b32 s13, s13, exec_lo
	s_delay_alu instid0(SALU_CYCLE_1)
	s_or_b32 s76, s72, s13
	s_mov_b32 s72, 0
	s_and_saveexec_b32 s77, s76
	s_cbranch_execz .LBB4_424
	s_branch .LBB4_423
.LBB4_429:                              ;   in Loop: Header=BB4_426 Depth=4
	s_add_co_i32 s72, s72, 1
	s_mov_b32 s75, -1
                                        ; implicit-def: $vgpr3
	s_and_saveexec_b32 s77, s76
	s_cbranch_execz .LBB4_424
	s_branch .LBB4_423
.LBB4_430:                              ;   in Loop: Header=BB4_420 Depth=3
	s_or_b32 exec_lo, exec_lo, s20
	s_xor_b32 s13, s21, -1
	s_delay_alu instid0(SALU_CYCLE_1) | instskip(NEXT) | instid1(SALU_CYCLE_1)
	s_and_saveexec_b32 s20, s13
	s_xor_b32 s13, exec_lo, s20
	s_cbranch_execz .LBB4_432
; %bb.431:                              ;   in Loop: Header=BB4_420 Depth=3
	v_or_b32_e32 v30, 64, v30
	s_wait_storecnt 0x0
	s_wait_loadcnt_dscnt 0x0
	ds_store_b32 v0, v3
	s_trap 2
.LBB4_432:                              ;   in Loop: Header=BB4_420 Depth=3
	s_or_b32 exec_lo, exec_lo, s13
.LBB4_433:                              ;   in Loop: Header=BB4_420 Depth=3
	s_delay_alu instid0(SALU_CYCLE_1) | instskip(SKIP_3) | instid1(VALU_DEP_1)
	s_or_b32 exec_lo, exec_lo, s19
	v_and_b32_e32 v3, 0x108, v30
	s_mov_b32 s13, exec_lo
	;;#ASMSTART
	s_wakeup
	;;#ASMEND
                                        ; implicit-def: $vgpr16_vgpr17
	v_cmpx_ne_u32_e32 0x108, v3
	s_xor_b32 s13, exec_lo, s13
; %bb.434:                              ;   in Loop: Header=BB4_420 Depth=3
	v_dual_mov_b32 v17, v2 :: v_dual_bitop2_b32 v16, 7, v114 bitop3:0x40
                                        ; implicit-def: $vgpr114_vgpr115
; %bb.435:                              ;   in Loop: Header=BB4_420 Depth=3
	s_and_not1_saveexec_b32 s13, s13
	s_cbranch_execz .LBB4_437
; %bb.436:                              ;   in Loop: Header=BB4_420 Depth=3
	v_dual_ashrrev_i32 v9, 31, v8 :: v_dual_bitop2_b32 v16, 7, v114 bitop3:0x40
	v_mov_b32_e32 v17, v2
	s_delay_alu instid0(VALU_DEP_2) | instskip(NEXT) | instid1(VALU_DEP_3)
	v_mad_nc_u64_u32 v[18:19], v16, 24, v[6:7]
	v_lshlrev_b64_e32 v[20:21], 2, v[8:9]
	flat_store_b64 v[18:19], v[20:21] offset:8
.LBB4_437:                              ;   in Loop: Header=BB4_420 Depth=3
	s_wait_xcnt 0x0
	s_or_b32 exec_lo, exec_lo, s13
	v_and_b32_e32 v3, 0x100, v30
	s_mov_b32 s13, -1
	s_mov_b32 s19, exec_lo
                                        ; implicit-def: $vgpr18_vgpr19
	s_delay_alu instid0(VALU_DEP_1)
	v_cmpx_ne_u32_e32 0, v3
	s_cbranch_execz .LBB4_441
; %bb.438:                              ;   in Loop: Header=BB4_420 Depth=3
	v_mad_nc_u64_u32 v[20:21], v16, 24, v[6:7]
	s_mov_b32 s20, exec_lo
                                        ; implicit-def: $vgpr18_vgpr19
	s_delay_alu instid0(VALU_DEP_1)
	v_mad_u32 v21, v17, 24, v21
	flat_load_b32 v3, v[20:21]
	s_wait_loadcnt_dscnt 0x0
	v_cmp_ne_u32_e32 vcc_lo, 1, v3
	s_wait_xcnt 0x0
	v_cmpx_eq_u32_e32 1, v3
	s_cbranch_execz .LBB4_440
; %bb.439:                              ;   in Loop: Header=BB4_420 Depth=3
	flat_load_b32 v18, v[20:21] offset:4 scope:SCOPE_SYS
	s_wait_loadcnt_dscnt 0x0
	v_ashrrev_i32_e32 v19, 31, v18
	s_delay_alu instid0(VALU_DEP_1)
	v_lshrrev_b64 v[18:19], 2, v[18:19]
.LBB4_440:                              ;   in Loop: Header=BB4_420 Depth=3
	s_wait_xcnt 0x0
	s_or_b32 exec_lo, exec_lo, s20
	s_delay_alu instid0(SALU_CYCLE_1)
	s_or_not1_b32 s13, vcc_lo, exec_lo
.LBB4_441:                              ;   in Loop: Header=BB4_420 Depth=3
	s_or_b32 exec_lo, exec_lo, s19
	s_and_saveexec_b32 s19, s13
; %bb.442:                              ;   in Loop: Header=BB4_420 Depth=3
	v_mul_u64_e32 v[18:19], v[16:17], v[34:35]
; %bb.443:                              ;   in Loop: Header=BB4_420 Depth=3
	s_or_b32 exec_lo, exec_lo, s19
	v_cmp_eq_u32_e32 vcc_lo, 0, v14
	v_and_b32_e32 v9, 0x2000, v30
	s_delay_alu instid0(VALU_DEP_3) | instskip(SKIP_2) | instid1(VALU_DEP_1)
	v_lshl_add_u64 v[14:15], v[18:19], 2, v[36:37]
	s_mov_b32 s13, exec_lo
	v_cndmask_b32_e32 v3, 0xc8, v108, vcc_lo
	v_add_nc_u32_e32 v3, v0, v3
	ds_store_b64 v3, v[14:15] offset:584
	v_cmpx_ne_u32_e32 0, v9
	s_cbranch_execz .LBB4_445
; %bb.444:                              ;   in Loop: Header=BB4_420 Depth=3
	ds_load_b64 v[14:15], v0 offset:872
	s_wait_dscnt 0x0
	v_add_nc_u64_e32 v[14:15], 1, v[14:15]
	ds_store_b64 v0, v[14:15] offset:872
.LBB4_445:                              ;   in Loop: Header=BB4_420 Depth=3
	s_or_b32 exec_lo, exec_lo, s13
	v_mov_b64_e32 v[114:115], v[12:13]
.LBB4_446:                              ;   in Loop: Header=BB4_420 Depth=3
	s_or_b32 exec_lo, exec_lo, s18
	s_xor_b32 s13, s17, -1
	s_delay_alu instid0(SALU_CYCLE_1) | instskip(NEXT) | instid1(SALU_CYCLE_1)
	s_and_b32 s13, exec_lo, s13
	s_or_b32 s16, s13, s16
	s_and_saveexec_b32 s13, s2
	s_cbranch_execz .LBB4_465
; %bb.447:                              ;   in Loop: Header=BB4_420 Depth=3
	s_and_saveexec_b32 s17, s3
	s_delay_alu instid0(SALU_CYCLE_1)
	s_xor_b32 s17, exec_lo, s17
	s_cbranch_execz .LBB4_462
; %bb.448:                              ;   in Loop: Header=BB4_420 Depth=3
	s_and_saveexec_b32 s18, s6
	s_cbranch_execz .LBB4_461
; %bb.449:                              ;   in Loop: Header=BB4_420 Depth=3
	s_mov_b32 s20, exec_lo
	s_mov_b32 s19, exec_lo
	v_mbcnt_lo_u32_b32 v3, s20, 0
	global_wb scope:SCOPE_DEV
	s_wait_storecnt 0x0
	s_wait_loadcnt_dscnt 0x0
	global_inv scope:SCOPE_DEV
	v_cmpx_eq_u32_e32 0, v3
	s_cbranch_execz .LBB4_451
; %bb.450:                              ;   in Loop: Header=BB4_420 Depth=3
	s_bcnt1_i32_b32 s20, s20
	s_delay_alu instid0(SALU_CYCLE_1)
	v_dual_mov_b32 v13, v2 :: v_dual_mov_b32 v12, s20
	s_wait_loadcnt 0x0
	ds_add_u64 v0, v[12:13]
	s_trap 2
.LBB4_451:                              ;   in Loop: Header=BB4_420 Depth=3
	s_or_b32 exec_lo, exec_lo, s19
	s_trap 2
	ds_load_b64 v[12:13], v0
	s_wait_dscnt 0x0
	v_add_nc_u64_e32 v[48:49], v[48:49], v[52:53]
	s_mov_b32 s19, exec_lo
	s_delay_alu instid0(VALU_DEP_1)
	v_cmpx_lt_u64_e64 v[12:13], v[48:49]
	s_cbranch_execz .LBB4_460
; %bb.452:                              ;   in Loop: Header=BB4_420 Depth=3
	s_mov_b32 s20, 0
	s_mov_b32 s43, 0
                                        ; implicit-def: $sgpr21
                                        ; implicit-def: $sgpr24
	s_branch .LBB4_454
.LBB4_453:                              ;   in Loop: Header=BB4_454 Depth=4
	s_or_b32 exec_lo, exec_lo, s73
	s_delay_alu instid0(SALU_CYCLE_1) | instskip(NEXT) | instid1(SALU_CYCLE_1)
	s_and_b32 s72, exec_lo, s74
	s_or_b32 s20, s72, s20
	s_and_not1_b32 s21, s21, exec_lo
	s_and_b32 s72, s24, exec_lo
	s_delay_alu instid0(SALU_CYCLE_1)
	s_or_b32 s21, s21, s72
	s_and_not1_b32 exec_lo, exec_lo, s20
	s_cbranch_execz .LBB4_458
.LBB4_454:                              ;   Parent Loop BB4_47 Depth=1
                                        ;     Parent Loop BB4_273 Depth=2
                                        ;       Parent Loop BB4_420 Depth=3
                                        ; =>      This Inner Loop Header: Depth=4
	s_add_co_i32 s43, s43, 1
	s_delay_alu instid0(SALU_CYCLE_1) | instskip(SKIP_1) | instid1(SALU_CYCLE_1)
	s_cmp_lg_u32 s43, 0x2710
	s_cselect_b32 s72, -1, 0
	s_and_b32 vcc_lo, exec_lo, s72
	s_cbranch_vccz .LBB4_456
; %bb.455:                              ;   in Loop: Header=BB4_454 Depth=4
	s_mov_b32 s74, -1
	s_or_b32 s24, s24, exec_lo
	s_and_saveexec_b32 s73, s72
	s_cbranch_execz .LBB4_453
	s_branch .LBB4_457
.LBB4_456:                              ;   in Loop: Header=BB4_454 Depth=4
	s_trap 2
	ds_load_b64 v[12:13], v0
	s_and_not1_b32 s72, s72, exec_lo
	s_mov_b32 s43, 0
	s_wait_loadcnt_dscnt 0x0
	flat_load_b32 v3, v[12:13] scope:SCOPE_SYS
	s_wait_loadcnt_dscnt 0x0
	global_inv scope:SCOPE_SYS
	v_cmp_eq_u32_e32 vcc_lo, 0, v3
	s_and_b32 s73, vcc_lo, exec_lo
	s_delay_alu instid0(SALU_CYCLE_1)
	s_or_b32 s72, s72, s73
	s_mov_b32 s74, -1
	s_or_b32 s24, s24, exec_lo
	s_and_saveexec_b32 s73, s72
	s_cbranch_execz .LBB4_453
.LBB4_457:                              ;   in Loop: Header=BB4_454 Depth=4
	s_sleep 1
	s_trap 2
	ds_load_b64 v[12:13], v0
	s_wait_dscnt 0x0
	s_and_not1_b32 s24, s24, exec_lo
	v_cmp_ge_u64_e32 vcc_lo, v[12:13], v[48:49]
	s_or_not1_b32 s74, vcc_lo, exec_lo
	s_branch .LBB4_453
.LBB4_458:                              ;   in Loop: Header=BB4_420 Depth=3
	s_or_b32 exec_lo, exec_lo, s20
	s_and_saveexec_b32 s20, s21
	s_delay_alu instid0(SALU_CYCLE_1)
	s_xor_b32 s20, exec_lo, s20
	s_cbranch_execz .LBB4_460
; %bb.459:                              ;   in Loop: Header=BB4_420 Depth=3
	ds_store_b32 v0, v107
	s_trap 2
.LBB4_460:                              ;   in Loop: Header=BB4_420 Depth=3
	s_or_b32 exec_lo, exec_lo, s19
	;;#ASMSTART
	s_wakeup
	;;#ASMEND
.LBB4_461:                              ;   in Loop: Header=BB4_420 Depth=3
	s_or_b32 exec_lo, exec_lo, s18
.LBB4_462:                              ;   in Loop: Header=BB4_420 Depth=3
	s_and_not1_saveexec_b32 s17, s17
	s_cbranch_execz .LBB4_464
; %bb.463:                              ;   in Loop: Header=BB4_420 Depth=3
	global_wb scope:SCOPE_DEV
	s_wait_storecnt 0x0
	s_wait_loadcnt_dscnt 0x0
	global_inv scope:SCOPE_DEV
	s_barrier_signal -1
	s_barrier_wait -1
.LBB4_464:                              ;   in Loop: Header=BB4_420 Depth=3
	s_or_b32 exec_lo, exec_lo, s17
.LBB4_465:                              ;   in Loop: Header=BB4_420 Depth=3
	s_delay_alu instid0(SALU_CYCLE_1) | instskip(SKIP_1) | instid1(SALU_CYCLE_1)
	s_or_b32 exec_lo, exec_lo, s13
                                        ; implicit-def: $vgpr3
	s_and_saveexec_b32 s13, s59
	s_xor_b32 s13, exec_lo, s13
	s_cbranch_execz .LBB4_477
; %bb.466:                              ;   in Loop: Header=BB4_420 Depth=3
	s_and_saveexec_b32 s17, s3
	s_delay_alu instid0(SALU_CYCLE_1)
	s_xor_b32 s17, exec_lo, s17
	s_cbranch_execz .LBB4_482
; %bb.467:                              ;   in Loop: Header=BB4_420 Depth=3
	s_and_saveexec_b32 s18, s6
	s_cbranch_execz .LBB4_481
; %bb.468:                              ;   in Loop: Header=BB4_420 Depth=3
	s_mov_b32 s20, exec_lo
	s_mov_b32 s19, exec_lo
	v_mbcnt_lo_u32_b32 v3, s20, 0
	;;#ASMSTART
	s_waitcnt lgkmcnt(0) vmcnt(0)
	;;#ASMEND
	s_delay_alu instid0(VALU_DEP_1)
	v_cmpx_eq_u32_e32 0, v3
	s_cbranch_execz .LBB4_470
; %bb.469:                              ;   in Loop: Header=BB4_420 Depth=3
	s_bcnt1_i32_b32 s20, s20
	s_delay_alu instid0(SALU_CYCLE_1)
	v_dual_mov_b32 v13, v2 :: v_dual_mov_b32 v12, s20
	s_wait_storecnt 0x0
	s_wait_loadcnt_dscnt 0x0
	ds_add_u64 v0, v[12:13]
	s_trap 2
.LBB4_470:                              ;   in Loop: Header=BB4_420 Depth=3
	s_or_b32 exec_lo, exec_lo, s19
	s_trap 2
	ds_load_b64 v[12:13], v0
	s_wait_dscnt 0x0
	v_add_nc_u64_e32 v[48:49], v[48:49], v[52:53]
	s_mov_b32 s19, exec_lo
	s_delay_alu instid0(VALU_DEP_1)
	v_cmpx_lt_u64_e64 v[12:13], v[48:49]
	s_cbranch_execz .LBB4_480
; %bb.471:                              ;   in Loop: Header=BB4_420 Depth=3
	s_mov_b32 s20, 0
	s_mov_b32 s43, 0
                                        ; implicit-def: $sgpr21
                                        ; implicit-def: $sgpr24
	s_branch .LBB4_473
.LBB4_472:                              ;   in Loop: Header=BB4_473 Depth=4
	s_or_b32 exec_lo, exec_lo, s73
	s_delay_alu instid0(SALU_CYCLE_1) | instskip(NEXT) | instid1(SALU_CYCLE_1)
	s_and_b32 s72, exec_lo, s74
	s_or_b32 s20, s72, s20
	s_and_not1_b32 s21, s21, exec_lo
	s_and_b32 s72, s24, exec_lo
	s_delay_alu instid0(SALU_CYCLE_1)
	s_or_b32 s21, s21, s72
	s_and_not1_b32 exec_lo, exec_lo, s20
	s_cbranch_execz .LBB4_478
.LBB4_473:                              ;   Parent Loop BB4_47 Depth=1
                                        ;     Parent Loop BB4_273 Depth=2
                                        ;       Parent Loop BB4_420 Depth=3
                                        ; =>      This Inner Loop Header: Depth=4
	s_add_co_i32 s43, s43, 1
	s_delay_alu instid0(SALU_CYCLE_1) | instskip(SKIP_1) | instid1(SALU_CYCLE_1)
	s_cmp_lg_u32 s43, 0x2710
	s_cselect_b32 s72, -1, 0
	s_and_b32 vcc_lo, exec_lo, s72
	s_cbranch_vccz .LBB4_475
; %bb.474:                              ;   in Loop: Header=BB4_473 Depth=4
	s_mov_b32 s74, -1
	s_or_b32 s24, s24, exec_lo
	s_and_saveexec_b32 s73, s72
	s_cbranch_execz .LBB4_472
	s_branch .LBB4_476
.LBB4_475:                              ;   in Loop: Header=BB4_473 Depth=4
	s_trap 2
	ds_load_b64 v[12:13], v0
	s_and_not1_b32 s72, s72, exec_lo
	s_mov_b32 s43, 0
	s_wait_storecnt 0x0
	s_wait_loadcnt_dscnt 0x0
	flat_load_b32 v3, v[12:13] scope:SCOPE_SYS
	s_wait_loadcnt_dscnt 0x0
	global_inv scope:SCOPE_SYS
	v_cmp_eq_u32_e32 vcc_lo, 0, v3
	s_and_b32 s73, vcc_lo, exec_lo
	s_delay_alu instid0(SALU_CYCLE_1)
	s_or_b32 s72, s72, s73
	s_mov_b32 s74, -1
	s_or_b32 s24, s24, exec_lo
	s_and_saveexec_b32 s73, s72
	s_cbranch_execz .LBB4_472
.LBB4_476:                              ;   in Loop: Header=BB4_473 Depth=4
	s_sleep 1
	s_trap 2
	ds_load_b64 v[12:13], v0
	s_wait_dscnt 0x0
	s_and_not1_b32 s24, s24, exec_lo
	v_cmp_ge_u64_e32 vcc_lo, v[12:13], v[48:49]
	s_or_not1_b32 s74, vcc_lo, exec_lo
	s_branch .LBB4_472
.LBB4_477:                              ;   in Loop: Header=BB4_420 Depth=3
	s_and_not1_saveexec_b32 s17, s13
	s_cbranch_execnz .LBB4_485
	s_branch .LBB4_488
.LBB4_478:                              ;   in Loop: Header=BB4_420 Depth=3
	s_or_b32 exec_lo, exec_lo, s20
	s_and_saveexec_b32 s20, s21
	s_delay_alu instid0(SALU_CYCLE_1)
	s_xor_b32 s20, exec_lo, s20
	s_cbranch_execz .LBB4_480
; %bb.479:                              ;   in Loop: Header=BB4_420 Depth=3
	ds_store_b32 v0, v107
	s_trap 2
.LBB4_480:                              ;   in Loop: Header=BB4_420 Depth=3
	s_or_b32 exec_lo, exec_lo, s19
	;;#ASMSTART
	s_wakeup
	;;#ASMEND
.LBB4_481:                              ;   in Loop: Header=BB4_420 Depth=3
	s_or_b32 exec_lo, exec_lo, s18
.LBB4_482:                              ;   in Loop: Header=BB4_420 Depth=3
	s_and_not1_saveexec_b32 s17, s17
	s_cbranch_execz .LBB4_484
; %bb.483:                              ;   in Loop: Header=BB4_420 Depth=3
	;;#ASMSTART
	s_waitcnt lgkmcnt(0) vmcnt(0)
	;;#ASMEND
	s_barrier_signal -1
	s_barrier_wait -1
.LBB4_484:                              ;   in Loop: Header=BB4_420 Depth=3
	s_or_b32 exec_lo, exec_lo, s17
	v_and_b32_e32 v3, 16, v30
	s_and_not1_saveexec_b32 s17, s13
	s_cbranch_execz .LBB4_488
.LBB4_485:                              ;   in Loop: Header=BB4_420 Depth=3
	s_trap 2
	ds_load_b32 v3, v0
	v_cmp_lt_i32_e32 vcc_lo, 0, v8
	s_wait_dscnt 0x0
	v_readfirstlane_b32 s13, v3
	v_and_b32_e32 v3, 16, v30
	s_cmp_eq_u32 s13, 0
	s_delay_alu instid0(VALU_DEP_1) | instskip(SKIP_3) | instid1(SALU_CYCLE_1)
	v_cmp_ne_u32_e64 s13, 0, v3
	s_cselect_b32 s18, -1, 0
	v_and_b32_e32 v3, 16, v30
	s_and_b32 s18, vcc_lo, s18
	s_and_b32 s18, s13, s18
	s_delay_alu instid0(SALU_CYCLE_1)
	s_and_saveexec_b32 s13, s18
	s_cbranch_execz .LBB4_487
; %bb.486:                              ;   in Loop: Header=BB4_420 Depth=3
	v_mov_b32_e32 v3, 1
	global_wb scope:SCOPE_SYS
	s_wait_loadcnt 0x0
	s_wait_storecnt 0x0
	global_inv scope:SCOPE_SYS
.LBB4_487:                              ;   in Loop: Header=BB4_420 Depth=3
	s_or_b32 exec_lo, exec_lo, s13
.LBB4_488:                              ;   in Loop: Header=BB4_420 Depth=3
	s_delay_alu instid0(SALU_CYCLE_1) | instskip(NEXT) | instid1(VALU_DEP_1)
	s_or_b32 exec_lo, exec_lo, s17
	v_cmp_ne_u32_e32 vcc_lo, 0, v3
	s_xor_b32 s13, s4, -1
	s_delay_alu instid0(SALU_CYCLE_1) | instskip(NEXT) | instid1(SALU_CYCLE_1)
	s_and_b32 s17, vcc_lo, s13
	s_and_saveexec_b32 s13, s17
	s_cbranch_execz .LBB4_490
; %bb.489:                              ;   in Loop: Header=BB4_420 Depth=3
	global_wb scope:SCOPE_SYS
	s_wait_storecnt 0x0
	s_wait_loadcnt_dscnt 0x0
	flat_store_b32 v[38:39], v107 scope:SCOPE_SYS
.LBB4_490:                              ;   in Loop: Header=BB4_420 Depth=3
	s_wait_xcnt 0x0
	s_or_b32 exec_lo, exec_lo, s13
	v_and_b32_e32 v3, 48, v30
	s_mov_b32 s13, exec_lo
	s_delay_alu instid0(VALU_DEP_1)
	v_cmpx_ne_u32_e32 0, v3
	s_cbranch_execz .LBB4_419
; %bb.491:                              ;   in Loop: Header=BB4_420 Depth=3
	v_add_nc_u64_e32 v[114:115], 2, v[114:115]
	global_wb scope:SCOPE_SYS
	s_wait_storecnt 0x0
	s_wait_loadcnt_dscnt 0x0
	flat_store_b64 v[32:33], v[114:115] scope:SCOPE_SYS
	s_branch .LBB4_419
.LBB4_492:                              ;   in Loop: Header=BB4_47 Depth=1
	v_mul_u64_e32 v[8:9], s[22:23], v[112:113]
	v_mov_b32_e32 v42, 0
	s_delay_alu instid0(VALU_DEP_2) | instskip(NEXT) | instid1(VALU_DEP_1)
	v_sub_nc_u64_e32 v[10:11], v[116:117], v[8:9]
	v_min_i64 v[10:11], v[112:113], v[10:11]
	s_delay_alu instid0(VALU_DEP_1) | instskip(SKIP_1) | instid1(VALU_DEP_2)
	v_max_i32_e32 v110, 0, v10
	v_cmp_lt_i32_e32 vcc_lo, 0, v10
	v_add_nc_u32_e32 v3, 31, v110
	s_and_b32 s13, s61, vcc_lo
	s_delay_alu instid0(VALU_DEP_1) | instskip(NEXT) | instid1(VALU_DEP_1)
	v_lshrrev_b32_e32 v3, 1, v3
	v_and_b32_e32 v11, 0x3ffffff0, v3
	s_delay_alu instid0(VALU_DEP_1)
	v_dual_mov_b32 v3, 0 :: v_dual_max_i32 v40, s57, v11
	s_and_saveexec_b32 s43, s13
	s_cbranch_execz .LBB4_673
; %bb.493:                              ;   in Loop: Header=BB4_47 Depth=1
	v_add_nc_u64_e32 v[8:9], v[8:9], v[118:119]
	v_mov_b32_e32 v42, 0
	s_mov_b32 s74, 1
	s_mov_b32 s73, -1
	s_mov_b32 s72, 0
	s_delay_alu instid0(VALU_DEP_2)
	v_lshlrev_b64_e32 v[44:45], 2, v[8:9]
	s_branch .LBB4_495
.LBB4_494:                              ;   in Loop: Header=BB4_495 Depth=2
	s_wait_xcnt 0x0
	s_or_b32 exec_lo, exec_lo, s13
	v_dual_mov_b32 v3, s74 :: v_dual_add_nc_u32 v42, v40, v42
	s_xor_b32 s13, s73, -1
	s_mov_b32 s73, 0
	s_mov_b32 s74, 2
	s_delay_alu instid0(VALU_DEP_1) | instskip(SKIP_1) | instid1(SALU_CYCLE_1)
	v_cmp_ge_i32_e32 vcc_lo, v42, v110
	s_or_b32 s13, s13, vcc_lo
	s_and_b32 s13, exec_lo, s13
	s_delay_alu instid0(SALU_CYCLE_1) | instskip(NEXT) | instid1(SALU_CYCLE_1)
	s_or_b32 s72, s13, s72
	s_and_not1_b32 exec_lo, exec_lo, s72
	s_cbranch_execz .LBB4_672
.LBB4_495:                              ;   Parent Loop BB4_47 Depth=1
                                        ; =>  This Loop Header: Depth=2
                                        ;       Child Loop BB4_503 Depth 3
                                        ;       Child Loop BB4_531 Depth 3
	;; [unrolled: 1-line block ×5, first 2 shown]
                                        ;         Child Loop BB4_578 Depth 4
                                        ;       Child Loop BB4_592 Depth 3
                                        ;       Child Loop BB4_597 Depth 3
                                        ;         Child Loop BB4_598 Depth 4
                                        ;       Child Loop BB4_610 Depth 3
                                        ;       Child Loop BB4_615 Depth 3
	;; [unrolled: 1-line block ×6, first 2 shown]
	s_and_saveexec_b32 s13, s0
	s_cbranch_execz .LBB4_497
; %bb.496:                              ;   in Loop: Header=BB4_495 Depth=2
	s_trap 2
	ds_load_b64 v[12:13], v0
	ds_load_2addr_b64 v[8:11], v0 offset1:1
	s_wait_dscnt 0x1
	v_cmp_ne_u64_e32 vcc_lo, 0, v[12:13]
	v_ashrrev_i32_e32 v43, 31, v42
	v_add_nc_u64_e32 v[16:17], v[12:13], v[44:45]
	s_wait_dscnt 0x0
	v_add_nc_u64_e32 v[8:9], v[8:9], v[44:45]
	v_add_nc_u64_e32 v[10:11], v[10:11], v[44:45]
	v_lshlrev_b64_e32 v[14:15], 2, v[42:43]
	s_delay_alu instid0(VALU_DEP_1) | instskip(NEXT) | instid1(VALU_DEP_4)
	v_add_nc_u64_e32 v[16:17], v[16:17], v[14:15]
	v_add_nc_u64_e32 v[8:9], v[8:9], v[14:15]
	s_delay_alu instid0(VALU_DEP_4) | instskip(NEXT) | instid1(VALU_DEP_3)
	v_add_nc_u64_e32 v[10:11], v[10:11], v[14:15]
	v_dual_cndmask_b32 v13, 0, v17 :: v_dual_cndmask_b32 v12, 0, v16
	ds_store_b64 v0, v[8:9]
	ds_store_b64 v0, v[10:11]
	;; [unrolled: 1-line block ×3, first 2 shown]
.LBB4_497:                              ;   in Loop: Header=BB4_495 Depth=2
	s_or_b32 exec_lo, exec_lo, s13
	v_sub_nc_u32_e32 v3, v110, v42
	v_and_b32_e32 v8, 12, v30
	s_mov_b32 s14, exec_lo
	s_delay_alu instid0(VALU_DEP_2) | instskip(NEXT) | instid1(VALU_DEP_2)
	v_min_i32_e32 v40, v40, v3
	v_cmpx_ne_u32_e32 0, v8
	s_cbranch_execz .LBB4_523
; %bb.498:                              ;   in Loop: Header=BB4_495 Depth=2
	v_dual_mov_b32 v11, v2 :: v_dual_bitop2_b32 v10, 8, v30 bitop3:0x40
	v_add_nc_u64_e32 v[8:9], 2, v[114:115]
	s_mov_b32 s15, exec_lo
	s_wait_loadcnt_dscnt 0x1
	s_delay_alu instid0(VALU_DEP_2) | instskip(NEXT) | instid1(VALU_DEP_1)
	v_add_nc_u64_e32 v[12:13], v[50:51], v[10:11]
	v_cmpx_lt_u64_e64 v[12:13], v[8:9]
	s_cbranch_execz .LBB4_510
; %bb.499:                              ;   in Loop: Header=BB4_495 Depth=2
	v_and_b32_e32 v3, 64, v30
	s_mov_b32 s16, 0
	s_mov_b32 s20, 0
                                        ; implicit-def: $sgpr17
                                        ; implicit-def: $sgpr18
                                        ; implicit-def: $sgpr19
	s_delay_alu instid0(VALU_DEP_1)
	v_cmp_eq_u32_e32 vcc_lo, 0, v3
	s_branch .LBB4_503
.LBB4_500:                              ;   in Loop: Header=BB4_503 Depth=3
	s_wait_loadcnt_dscnt 0x0
	v_add_nc_u64_e32 v[12:13], v[50:51], v[10:11]
	s_or_b32 s75, s75, exec_lo
	s_delay_alu instid0(VALU_DEP_1)
	v_cmp_ge_u64_e64 s13, v[12:13], v[8:9]
	s_or_not1_b32 s24, s13, exec_lo
.LBB4_501:                              ;   in Loop: Header=BB4_503 Depth=3
	s_or_b32 exec_lo, exec_lo, s77
	s_delay_alu instid0(SALU_CYCLE_1)
	s_and_not1_b32 s13, s19, exec_lo
	s_and_b32 s19, s75, exec_lo
	s_and_not1_b32 s18, s18, exec_lo
	s_and_b32 s24, s24, exec_lo
	s_or_b32 s19, s13, s19
	s_or_b32 s18, s18, s24
.LBB4_502:                              ;   in Loop: Header=BB4_503 Depth=3
	s_or_b32 exec_lo, exec_lo, s21
	s_delay_alu instid0(SALU_CYCLE_1) | instskip(NEXT) | instid1(SALU_CYCLE_1)
	s_and_b32 s13, exec_lo, s18
	s_or_b32 s16, s13, s16
	s_and_not1_b32 s13, s17, exec_lo
	s_and_b32 s17, s19, exec_lo
	s_delay_alu instid0(SALU_CYCLE_1)
	s_or_b32 s17, s13, s17
	s_and_not1_b32 exec_lo, exec_lo, s16
	s_cbranch_execz .LBB4_507
.LBB4_503:                              ;   Parent Loop BB4_47 Depth=1
                                        ;     Parent Loop BB4_495 Depth=2
                                        ; =>    This Inner Loop Header: Depth=3
	s_sleep 1
	s_wait_loadcnt_dscnt 0x0
	flat_load_b64 v[50:51], v[32:33] scope:SCOPE_SYS
	s_or_b32 s19, s19, exec_lo
	s_or_b32 s18, s18, exec_lo
                                        ; implicit-def: $vgpr3
	s_wait_xcnt 0x0
	s_and_saveexec_b32 s21, vcc_lo
	s_cbranch_execz .LBB4_502
; %bb.504:                              ;   in Loop: Header=BB4_503 Depth=3
	s_cmp_lt_i32 s20, 0x270f
	s_mov_b32 s24, -1
	s_cselect_b32 s76, -1, 0
	s_cmp_gt_i32 s20, 0x270e
	s_cbranch_scc0 .LBB4_506
; %bb.505:                              ;   in Loop: Header=BB4_503 Depth=3
	s_trap 2
	ds_load_b64 v[12:13], v0
	s_and_not1_b32 s20, s76, exec_lo
	s_mov_b32 s75, 0
	s_wait_storecnt 0x0
	s_wait_loadcnt_dscnt 0x0
	flat_load_b32 v3, v[12:13] scope:SCOPE_SYS
	s_wait_loadcnt_dscnt 0x0
	global_inv scope:SCOPE_SYS
	v_cmp_eq_u32_e64 s13, 0, v3
	s_and_b32 s13, s13, exec_lo
	s_delay_alu instid0(SALU_CYCLE_1)
	s_or_b32 s76, s20, s13
	s_mov_b32 s20, 0
	s_and_saveexec_b32 s77, s76
	s_cbranch_execz .LBB4_501
	s_branch .LBB4_500
.LBB4_506:                              ;   in Loop: Header=BB4_503 Depth=3
	s_add_co_i32 s20, s20, 1
	s_mov_b32 s75, -1
                                        ; implicit-def: $vgpr3
	s_and_saveexec_b32 s77, s76
	s_cbranch_execz .LBB4_501
	s_branch .LBB4_500
.LBB4_507:                              ;   in Loop: Header=BB4_495 Depth=2
	s_or_b32 exec_lo, exec_lo, s16
	s_xor_b32 s13, s17, -1
	s_delay_alu instid0(SALU_CYCLE_1) | instskip(NEXT) | instid1(SALU_CYCLE_1)
	s_and_saveexec_b32 s16, s13
	s_xor_b32 s13, exec_lo, s16
	s_cbranch_execz .LBB4_509
; %bb.508:                              ;   in Loop: Header=BB4_495 Depth=2
	v_or_b32_e32 v30, 64, v30
	s_wait_storecnt 0x0
	s_wait_loadcnt_dscnt 0x0
	ds_store_b32 v0, v3
	s_trap 2
.LBB4_509:                              ;   in Loop: Header=BB4_495 Depth=2
	s_or_b32 exec_lo, exec_lo, s13
.LBB4_510:                              ;   in Loop: Header=BB4_495 Depth=2
	s_delay_alu instid0(SALU_CYCLE_1) | instskip(SKIP_3) | instid1(VALU_DEP_1)
	s_or_b32 exec_lo, exec_lo, s15
	v_and_b32_e32 v3, 0x108, v30
	s_mov_b32 s13, exec_lo
	;;#ASMSTART
	s_wakeup
	;;#ASMEND
                                        ; implicit-def: $vgpr12_vgpr13
	v_cmpx_ne_u32_e32 0x108, v3
	s_xor_b32 s13, exec_lo, s13
; %bb.511:                              ;   in Loop: Header=BB4_495 Depth=2
	v_dual_mov_b32 v13, v2 :: v_dual_bitop2_b32 v12, 7, v114 bitop3:0x40
                                        ; implicit-def: $vgpr114_vgpr115
; %bb.512:                              ;   in Loop: Header=BB4_495 Depth=2
	s_and_not1_saveexec_b32 s13, s13
	s_cbranch_execz .LBB4_514
; %bb.513:                              ;   in Loop: Header=BB4_495 Depth=2
	v_dual_ashrrev_i32 v41, 31, v40 :: v_dual_bitop2_b32 v12, 7, v114 bitop3:0x40
	v_mov_b32_e32 v13, v2
	s_delay_alu instid0(VALU_DEP_2) | instskip(NEXT) | instid1(VALU_DEP_3)
	v_mad_nc_u64_u32 v[14:15], v12, 24, v[6:7]
	v_lshlrev_b64_e32 v[16:17], 2, v[40:41]
	flat_store_b64 v[14:15], v[16:17] offset:8
.LBB4_514:                              ;   in Loop: Header=BB4_495 Depth=2
	s_wait_xcnt 0x0
	s_or_b32 exec_lo, exec_lo, s13
	v_and_b32_e32 v3, 0x100, v30
	s_mov_b32 s13, -1
	s_mov_b32 s15, exec_lo
                                        ; implicit-def: $vgpr14_vgpr15
	s_delay_alu instid0(VALU_DEP_1)
	v_cmpx_ne_u32_e32 0, v3
	s_cbranch_execz .LBB4_518
; %bb.515:                              ;   in Loop: Header=BB4_495 Depth=2
	v_mad_nc_u64_u32 v[16:17], v12, 24, v[6:7]
	s_mov_b32 s16, exec_lo
                                        ; implicit-def: $vgpr14_vgpr15
	s_delay_alu instid0(VALU_DEP_1)
	v_mad_u32 v17, v13, 24, v17
	flat_load_b32 v3, v[16:17]
	s_wait_loadcnt_dscnt 0x0
	v_cmp_ne_u32_e32 vcc_lo, 1, v3
	s_wait_xcnt 0x0
	v_cmpx_eq_u32_e32 1, v3
	s_cbranch_execz .LBB4_517
; %bb.516:                              ;   in Loop: Header=BB4_495 Depth=2
	flat_load_b32 v14, v[16:17] offset:4 scope:SCOPE_SYS
	s_wait_loadcnt_dscnt 0x0
	v_ashrrev_i32_e32 v15, 31, v14
	s_delay_alu instid0(VALU_DEP_1)
	v_lshrrev_b64 v[14:15], 2, v[14:15]
.LBB4_517:                              ;   in Loop: Header=BB4_495 Depth=2
	s_wait_xcnt 0x0
	s_or_b32 exec_lo, exec_lo, s16
	s_delay_alu instid0(SALU_CYCLE_1)
	s_or_not1_b32 s13, vcc_lo, exec_lo
.LBB4_518:                              ;   in Loop: Header=BB4_495 Depth=2
	s_or_b32 exec_lo, exec_lo, s15
	s_and_saveexec_b32 s15, s13
; %bb.519:                              ;   in Loop: Header=BB4_495 Depth=2
	v_mul_u64_e32 v[14:15], v[12:13], v[34:35]
; %bb.520:                              ;   in Loop: Header=BB4_495 Depth=2
	s_or_b32 exec_lo, exec_lo, s15
	v_cmp_eq_u32_e32 vcc_lo, 0, v10
	v_and_b32_e32 v12, 0x2000, v30
	s_delay_alu instid0(VALU_DEP_3) | instskip(SKIP_2) | instid1(VALU_DEP_1)
	v_lshl_add_u64 v[10:11], v[14:15], 2, v[36:37]
	s_mov_b32 s13, exec_lo
	v_cndmask_b32_e32 v3, 0xd0, v108, vcc_lo
	v_add_nc_u32_e32 v3, v0, v3
	ds_store_b64 v3, v[10:11] offset:584
	v_cmpx_ne_u32_e32 0, v12
	s_cbranch_execz .LBB4_522
; %bb.521:                              ;   in Loop: Header=BB4_495 Depth=2
	ds_load_b64 v[10:11], v0 offset:872
	s_wait_dscnt 0x0
	v_add_nc_u64_e32 v[10:11], 1, v[10:11]
	ds_store_b64 v0, v[10:11] offset:872
.LBB4_522:                              ;   in Loop: Header=BB4_495 Depth=2
	s_or_b32 exec_lo, exec_lo, s13
	v_mov_b64_e32 v[114:115], v[8:9]
.LBB4_523:                              ;   in Loop: Header=BB4_495 Depth=2
	s_or_b32 exec_lo, exec_lo, s14
	s_and_saveexec_b32 s13, s2
	s_cbranch_execz .LBB4_542
; %bb.524:                              ;   in Loop: Header=BB4_495 Depth=2
	s_and_saveexec_b32 s14, s3
	s_delay_alu instid0(SALU_CYCLE_1)
	s_xor_b32 s14, exec_lo, s14
	s_cbranch_execz .LBB4_539
; %bb.525:                              ;   in Loop: Header=BB4_495 Depth=2
	s_and_saveexec_b32 s15, s6
	s_cbranch_execz .LBB4_538
; %bb.526:                              ;   in Loop: Header=BB4_495 Depth=2
	s_mov_b32 s17, exec_lo
	s_mov_b32 s16, exec_lo
	v_mbcnt_lo_u32_b32 v3, s17, 0
	global_wb scope:SCOPE_DEV
	s_wait_storecnt 0x0
	s_wait_loadcnt_dscnt 0x0
	global_inv scope:SCOPE_DEV
	v_cmpx_eq_u32_e32 0, v3
	s_cbranch_execz .LBB4_528
; %bb.527:                              ;   in Loop: Header=BB4_495 Depth=2
	s_bcnt1_i32_b32 s17, s17
	s_delay_alu instid0(SALU_CYCLE_1)
	v_dual_mov_b32 v9, v2 :: v_dual_mov_b32 v8, s17
	s_wait_loadcnt 0x0
	ds_add_u64 v0, v[8:9]
	s_trap 2
.LBB4_528:                              ;   in Loop: Header=BB4_495 Depth=2
	s_or_b32 exec_lo, exec_lo, s16
	s_trap 2
	ds_load_b64 v[8:9], v0
	s_wait_dscnt 0x0
	v_add_nc_u64_e32 v[48:49], v[48:49], v[52:53]
	s_mov_b32 s16, exec_lo
	s_delay_alu instid0(VALU_DEP_1)
	v_cmpx_lt_u64_e64 v[8:9], v[48:49]
	s_cbranch_execz .LBB4_537
; %bb.529:                              ;   in Loop: Header=BB4_495 Depth=2
	s_mov_b32 s17, 0
	s_mov_b32 s20, 0
                                        ; implicit-def: $sgpr18
                                        ; implicit-def: $sgpr19
	s_branch .LBB4_531
.LBB4_530:                              ;   in Loop: Header=BB4_531 Depth=3
	s_or_b32 exec_lo, exec_lo, s24
	s_delay_alu instid0(SALU_CYCLE_1) | instskip(NEXT) | instid1(SALU_CYCLE_1)
	s_and_b32 s21, exec_lo, s75
	s_or_b32 s17, s21, s17
	s_and_not1_b32 s18, s18, exec_lo
	s_and_b32 s21, s19, exec_lo
	s_delay_alu instid0(SALU_CYCLE_1)
	s_or_b32 s18, s18, s21
	s_and_not1_b32 exec_lo, exec_lo, s17
	s_cbranch_execz .LBB4_535
.LBB4_531:                              ;   Parent Loop BB4_47 Depth=1
                                        ;     Parent Loop BB4_495 Depth=2
                                        ; =>    This Inner Loop Header: Depth=3
	s_add_co_i32 s20, s20, 1
	s_delay_alu instid0(SALU_CYCLE_1) | instskip(SKIP_1) | instid1(SALU_CYCLE_1)
	s_cmp_lg_u32 s20, 0x2710
	s_cselect_b32 s21, -1, 0
	s_and_b32 vcc_lo, exec_lo, s21
	s_cbranch_vccz .LBB4_533
; %bb.532:                              ;   in Loop: Header=BB4_531 Depth=3
	s_mov_b32 s75, -1
	s_or_b32 s19, s19, exec_lo
	s_and_saveexec_b32 s24, s21
	s_cbranch_execz .LBB4_530
	s_branch .LBB4_534
.LBB4_533:                              ;   in Loop: Header=BB4_531 Depth=3
	s_trap 2
	ds_load_b64 v[8:9], v0
	s_and_not1_b32 s21, s21, exec_lo
	s_mov_b32 s20, 0
	s_wait_loadcnt_dscnt 0x0
	flat_load_b32 v3, v[8:9] scope:SCOPE_SYS
	s_wait_loadcnt_dscnt 0x0
	global_inv scope:SCOPE_SYS
	v_cmp_eq_u32_e32 vcc_lo, 0, v3
	s_and_b32 s24, vcc_lo, exec_lo
	s_delay_alu instid0(SALU_CYCLE_1)
	s_or_b32 s21, s21, s24
	s_mov_b32 s75, -1
	s_or_b32 s19, s19, exec_lo
	s_and_saveexec_b32 s24, s21
	s_cbranch_execz .LBB4_530
.LBB4_534:                              ;   in Loop: Header=BB4_531 Depth=3
	s_sleep 1
	s_trap 2
	ds_load_b64 v[8:9], v0
	s_wait_dscnt 0x0
	s_and_not1_b32 s19, s19, exec_lo
	v_cmp_ge_u64_e32 vcc_lo, v[8:9], v[48:49]
	s_or_not1_b32 s75, vcc_lo, exec_lo
	s_branch .LBB4_530
.LBB4_535:                              ;   in Loop: Header=BB4_495 Depth=2
	s_or_b32 exec_lo, exec_lo, s17
	s_and_saveexec_b32 s17, s18
	s_delay_alu instid0(SALU_CYCLE_1)
	s_xor_b32 s17, exec_lo, s17
	s_cbranch_execz .LBB4_537
; %bb.536:                              ;   in Loop: Header=BB4_495 Depth=2
	ds_store_b32 v0, v107
	s_trap 2
.LBB4_537:                              ;   in Loop: Header=BB4_495 Depth=2
	s_or_b32 exec_lo, exec_lo, s16
	;;#ASMSTART
	s_wakeup
	;;#ASMEND
.LBB4_538:                              ;   in Loop: Header=BB4_495 Depth=2
	s_or_b32 exec_lo, exec_lo, s15
.LBB4_539:                              ;   in Loop: Header=BB4_495 Depth=2
	s_and_not1_saveexec_b32 s14, s14
	s_cbranch_execz .LBB4_541
; %bb.540:                              ;   in Loop: Header=BB4_495 Depth=2
	global_wb scope:SCOPE_DEV
	s_wait_storecnt 0x0
	s_wait_loadcnt_dscnt 0x0
	global_inv scope:SCOPE_DEV
	s_barrier_signal -1
	s_barrier_wait -1
.LBB4_541:                              ;   in Loop: Header=BB4_495 Depth=2
	s_or_b32 exec_lo, exec_lo, s14
.LBB4_542:                              ;   in Loop: Header=BB4_495 Depth=2
	s_delay_alu instid0(SALU_CYCLE_1) | instskip(SKIP_4) | instid1(VALU_DEP_1)
	s_or_b32 exec_lo, exec_lo, s13
	s_trap 2
	ds_load_b32 v3, v0
	v_and_b32_e32 v8, 0x4000, v30
	s_xor_b32 s13, s1, -1
	v_cmp_ne_u32_e32 vcc_lo, 0, v8
	s_and_b32 s14, s13, vcc_lo
	s_delay_alu instid0(SALU_CYCLE_1)
	s_and_saveexec_b32 s13, s14
	s_cbranch_execz .LBB4_561
; %bb.543:                              ;   in Loop: Header=BB4_495 Depth=2
	s_and_saveexec_b32 s14, s3
	s_delay_alu instid0(SALU_CYCLE_1)
	s_xor_b32 s14, exec_lo, s14
	s_cbranch_execz .LBB4_558
; %bb.544:                              ;   in Loop: Header=BB4_495 Depth=2
	s_and_saveexec_b32 s15, s6
	s_cbranch_execz .LBB4_557
; %bb.545:                              ;   in Loop: Header=BB4_495 Depth=2
	s_mov_b32 s17, exec_lo
	s_mov_b32 s16, exec_lo
	v_mbcnt_lo_u32_b32 v8, s17, 0
	global_wb scope:SCOPE_DEV
	s_wait_storecnt 0x0
	s_wait_loadcnt_dscnt 0x0
	global_inv scope:SCOPE_DEV
	v_cmpx_eq_u32_e32 0, v8
	s_cbranch_execz .LBB4_547
; %bb.546:                              ;   in Loop: Header=BB4_495 Depth=2
	s_bcnt1_i32_b32 s17, s17
	s_delay_alu instid0(SALU_CYCLE_1)
	v_dual_mov_b32 v9, v2 :: v_dual_mov_b32 v8, s17
	s_wait_loadcnt 0x0
	ds_add_u64 v0, v[8:9]
	s_trap 2
.LBB4_547:                              ;   in Loop: Header=BB4_495 Depth=2
	s_or_b32 exec_lo, exec_lo, s16
	s_trap 2
	ds_load_b64 v[8:9], v0
	s_wait_dscnt 0x0
	v_add_nc_u64_e32 v[48:49], v[48:49], v[52:53]
	s_mov_b32 s16, exec_lo
	s_delay_alu instid0(VALU_DEP_1)
	v_cmpx_lt_u64_e64 v[8:9], v[48:49]
	s_cbranch_execz .LBB4_556
; %bb.548:                              ;   in Loop: Header=BB4_495 Depth=2
	s_mov_b32 s17, 0
	s_mov_b32 s20, 0
                                        ; implicit-def: $sgpr18
                                        ; implicit-def: $sgpr19
	s_branch .LBB4_550
.LBB4_549:                              ;   in Loop: Header=BB4_550 Depth=3
	s_or_b32 exec_lo, exec_lo, s24
	s_delay_alu instid0(SALU_CYCLE_1) | instskip(NEXT) | instid1(SALU_CYCLE_1)
	s_and_b32 s21, exec_lo, s75
	s_or_b32 s17, s21, s17
	s_and_not1_b32 s18, s18, exec_lo
	s_and_b32 s21, s19, exec_lo
	s_delay_alu instid0(SALU_CYCLE_1)
	s_or_b32 s18, s18, s21
	s_and_not1_b32 exec_lo, exec_lo, s17
	s_cbranch_execz .LBB4_554
.LBB4_550:                              ;   Parent Loop BB4_47 Depth=1
                                        ;     Parent Loop BB4_495 Depth=2
                                        ; =>    This Inner Loop Header: Depth=3
	s_add_co_i32 s20, s20, 1
	s_delay_alu instid0(SALU_CYCLE_1) | instskip(SKIP_1) | instid1(SALU_CYCLE_1)
	s_cmp_lg_u32 s20, 0x2710
	s_cselect_b32 s21, -1, 0
	s_and_b32 vcc_lo, exec_lo, s21
	s_cbranch_vccz .LBB4_552
; %bb.551:                              ;   in Loop: Header=BB4_550 Depth=3
	s_mov_b32 s75, -1
	s_or_b32 s19, s19, exec_lo
	s_and_saveexec_b32 s24, s21
	s_cbranch_execz .LBB4_549
	s_branch .LBB4_553
.LBB4_552:                              ;   in Loop: Header=BB4_550 Depth=3
	s_trap 2
	ds_load_b64 v[8:9], v0
	s_and_not1_b32 s21, s21, exec_lo
	s_mov_b32 s20, 0
	s_wait_loadcnt_dscnt 0x0
	flat_load_b32 v8, v[8:9] scope:SCOPE_SYS
	s_wait_loadcnt_dscnt 0x0
	global_inv scope:SCOPE_SYS
	v_cmp_eq_u32_e32 vcc_lo, 0, v8
	s_and_b32 s24, vcc_lo, exec_lo
	s_delay_alu instid0(SALU_CYCLE_1)
	s_or_b32 s21, s21, s24
	s_mov_b32 s75, -1
	s_or_b32 s19, s19, exec_lo
	s_and_saveexec_b32 s24, s21
	s_cbranch_execz .LBB4_549
.LBB4_553:                              ;   in Loop: Header=BB4_550 Depth=3
	s_sleep 1
	s_trap 2
	ds_load_b64 v[8:9], v0
	s_wait_dscnt 0x0
	s_and_not1_b32 s19, s19, exec_lo
	v_cmp_ge_u64_e32 vcc_lo, v[8:9], v[48:49]
	s_or_not1_b32 s75, vcc_lo, exec_lo
	s_branch .LBB4_549
.LBB4_554:                              ;   in Loop: Header=BB4_495 Depth=2
	s_or_b32 exec_lo, exec_lo, s17
	s_and_saveexec_b32 s17, s18
	s_delay_alu instid0(SALU_CYCLE_1)
	s_xor_b32 s17, exec_lo, s17
	s_cbranch_execz .LBB4_556
; %bb.555:                              ;   in Loop: Header=BB4_495 Depth=2
	ds_store_b32 v0, v107
	s_trap 2
.LBB4_556:                              ;   in Loop: Header=BB4_495 Depth=2
	s_or_b32 exec_lo, exec_lo, s16
	;;#ASMSTART
	s_wakeup
	;;#ASMEND
.LBB4_557:                              ;   in Loop: Header=BB4_495 Depth=2
	s_or_b32 exec_lo, exec_lo, s15
.LBB4_558:                              ;   in Loop: Header=BB4_495 Depth=2
	s_and_not1_saveexec_b32 s14, s14
	s_cbranch_execz .LBB4_560
; %bb.559:                              ;   in Loop: Header=BB4_495 Depth=2
	global_wb scope:SCOPE_DEV
	s_wait_storecnt 0x0
	s_wait_loadcnt_dscnt 0x0
	global_inv scope:SCOPE_DEV
	s_barrier_signal -1
	s_barrier_wait -1
.LBB4_560:                              ;   in Loop: Header=BB4_495 Depth=2
	s_or_b32 exec_lo, exec_lo, s14
.LBB4_561:                              ;   in Loop: Header=BB4_495 Depth=2
	s_delay_alu instid0(SALU_CYCLE_1)
	s_or_b32 exec_lo, exec_lo, s13
	s_trap 2
	ds_load_b64 v[56:57], v0
	s_wait_dscnt 0x0
	v_cmp_eq_u64_e32 vcc_lo, 0, v[56:57]
	s_cbranch_vccnz .LBB4_583
; %bb.562:                              ;   in Loop: Header=BB4_495 Depth=2
	s_trap 2
	ds_load_b64 v[46:47], v0
	s_wait_dscnt 0x0
	v_cmp_eq_u64_e32 vcc_lo, 0, v[46:47]
	s_cbranch_vccnz .LBB4_583
; %bb.563:                              ;   in Loop: Header=BB4_495 Depth=2
	s_trap 2
	ds_load_b64 v[58:59], v0
	v_cmp_eq_u32_e32 vcc_lo, 0, v3
	s_mov_b32 s13, -1
	v_cndmask_b32_e32 v41, 0, v40, vcc_lo
	s_delay_alu instid0(VALU_DEP_1)
	v_lshlrev_b32_e32 v43, 2, v41
	s_wait_dscnt 0x0
	v_cmp_ne_u64_e32 vcc_lo, 0, v[58:59]
	s_cbranch_vccz .LBB4_601
; %bb.564:                              ;   in Loop: Header=BB4_495 Depth=2
	s_and_saveexec_b32 s14, s11
	s_cbranch_execz .LBB4_566
; %bb.565:                              ;   in Loop: Header=BB4_495 Depth=2
	ds_load_b32 v3, v0 offset:720
	s_wait_dscnt 0x0
	v_and_b32_e32 v3, 15, v3
	s_delay_alu instid0(VALU_DEP_1)
	v_cmp_eq_u32_e32 vcc_lo, 0, v3
	s_or_not1_b32 s13, vcc_lo, exec_lo
.LBB4_566:                              ;   in Loop: Header=BB4_495 Depth=2
	s_or_b32 exec_lo, exec_lo, s14
	s_and_saveexec_b32 s14, s11
	s_cbranch_execz .LBB4_568
; %bb.567:                              ;   in Loop: Header=BB4_495 Depth=2
	ds_load_b32 v3, v0 offset:784
	s_wait_dscnt 0x0
	v_and_b32_e32 v3, 15, v3
	s_delay_alu instid0(VALU_DEP_1) | instskip(SKIP_3) | instid1(SALU_CYCLE_1)
	v_cmp_eq_u32_e32 vcc_lo, 0, v3
	s_and_b32 s15, s13, vcc_lo
	s_and_not1_b32 s13, s13, exec_lo
	s_and_b32 s15, s15, exec_lo
	s_or_b32 s13, s13, s15
.LBB4_568:                              ;   in Loop: Header=BB4_495 Depth=2
	s_or_b32 exec_lo, exec_lo, s14
	s_xor_b32 s13, s13, -1
	s_delay_alu instid0(SALU_CYCLE_1) | instskip(SKIP_1) | instid1(VALU_DEP_1)
	v_cndmask_b32_e64 v3, 0, 1, s13
	s_mov_b32 s13, -1
	v_cmp_ne_u32_e32 vcc_lo, 0, v3
	s_cbranch_vccz .LBB4_588
; %bb.569:                              ;   in Loop: Header=BB4_495 Depth=2
	v_alignbit_b32 v111, v58, v58, 1
	s_mov_b32 s76, -1
	s_delay_alu instid0(VALU_DEP_1)
	v_readfirstlane_b32 s14, v111
	s_and_b32 s75, s14, 0x7fffffff
	v_mov_b32_e32 v3, 0
	s_cbranch_execnz .LBB4_589
.LBB4_570:                              ;   in Loop: Header=BB4_495 Depth=2
	v_ashrrev_i32_e32 v3, 31, v43
	v_alignbit_b32 v111, v58, v58, 1
	s_mov_b32 s77, exec_lo
	s_delay_alu instid0(VALU_DEP_2) | instskip(NEXT) | instid1(VALU_DEP_2)
	v_lshrrev_b32_e32 v3, 22, v3
	v_readfirstlane_b32 s13, v111
	s_delay_alu instid0(VALU_DEP_2) | instskip(SKIP_1) | instid1(VALU_DEP_1)
	v_add_nc_u32_e32 v3, v43, v3
	s_and_b32 s75, s13, 0x7fffffff
	v_ashrrev_i32_e32 v121, 10, v3
	s_delay_alu instid0(VALU_DEP_1) | instskip(NEXT) | instid1(VALU_DEP_1)
	v_sub_nc_u32_e32 v120, v121, v106
	v_cmpx_lt_i32_e32 0, v120
	s_cbranch_execz .LBB4_574
; %bb.571:                              ;   in Loop: Header=BB4_495 Depth=2
	s_cvt_f32_u32 s13, s75
	s_trap 2
	ds_load_b64 v[8:9], v0
	s_sub_co_i32 s14, 0, s75
	v_rcp_iflag_f32_e32 v3, s13
	v_add_nc_u64_e32 v[60:61], v[56:57], v[80:81]
	v_add_nc_u64_e32 v[62:63], v[46:47], v[80:81]
	;; [unrolled: 1-line block ×3, first 2 shown]
	s_mov_b32 s78, 0
	s_delay_alu instid0(TRANS32_DEP_1) | instskip(SKIP_1) | instid1(SALU_CYCLE_3)
	v_readfirstlane_b32 s13, v3
	s_mul_f32 s13, s13, 0x4f7ffffe
	s_cvt_u32_f32 s13, s13
	s_wait_dscnt 0x0
	v_add_nc_u64_e32 v[72:73], v[8:9], v[80:81]
	s_delay_alu instid0(SALU_CYCLE_1) | instskip(NEXT) | instid1(SALU_CYCLE_1)
	s_mul_i32 s14, s14, s13
	s_mul_hi_u32 s14, s13, s14
	s_delay_alu instid0(SALU_CYCLE_1) | instskip(NEXT) | instid1(SALU_CYCLE_1)
	s_add_co_i32 s13, s13, s14
	s_mul_hi_u32 s13, s13, -1
	s_delay_alu instid0(SALU_CYCLE_1) | instskip(SKIP_2) | instid1(SALU_CYCLE_1)
	s_mul_i32 s14, s13, s75
	s_add_co_i32 s15, s13, 1
	s_not_b32 s14, s14
	s_sub_co_i32 s16, s14, s75
	s_cmp_ge_u32 s14, s75
	s_cselect_b32 s13, s15, s13
	s_cselect_b32 s14, s16, s14
	s_add_co_i32 s15, s13, 1
	s_cmp_ge_u32 s14, s75
	s_cselect_b32 s24, s15, s13
.LBB4_572:                              ;   Parent Loop BB4_47 Depth=1
                                        ;     Parent Loop BB4_495 Depth=2
                                        ; =>    This Inner Loop Header: Depth=3
	global_load_b128 v[20:23], v[72:73], off th:TH_LOAD_NT
	global_load_b128 v[16:19], v[60:61], off th:TH_LOAD_NT
	global_load_b128 v[12:15], v[72:73], off offset:512 th:TH_LOAD_NT
	global_load_b128 v[8:11], v[60:61], off offset:512 th:TH_LOAD_NT
	v_dual_mov_b32 v125, v2 :: v_dual_mov_b32 v79, v2
	v_dual_mov_b32 v77, v2 :: v_dual_mov_b32 v91, v2
	;; [unrolled: 1-line block ×3, first 2 shown]
	v_dual_mov_b32 v93, v2 :: v_dual_sub_nc_u32 v120, v120, v52
	v_mov_b32_e32 v123, v2
	s_wait_xcnt 0x0
	v_add_nc_u64_e32 v[60:61], v[60:61], v[82:83]
	v_add_nc_u64_e32 v[72:73], v[72:73], v[82:83]
	v_cmp_gt_i32_e32 vcc_lo, 1, v120
	s_or_b32 s78, vcc_lo, s78
	s_wait_loadcnt 0x2
	v_dual_mov_b32 v3, v21 :: v_dual_add_nc_u32 v20, v20, v16
	s_wait_loadcnt 0x0
	v_dual_add_nc_u32 v21, v22, v18 :: v_dual_add_nc_u32 v12, v12, v8
	v_add_nc_u32_e32 v14, v14, v10
	s_delay_alu instid0(VALU_DEP_3) | instskip(NEXT) | instid1(VALU_DEP_3)
	v_add_nc_u64_e32 v[16:17], v[2:3], v[16:17]
	v_dual_sub_nc_u32 v26, 0, v21 :: v_dual_bitop2_b32 v16, v111, v20 bitop3:0x40
	v_dual_mov_b32 v3, v23 :: v_dual_sub_nc_u32 v22, 0, v20
	v_dual_sub_nc_u32 v76, 0, v12 :: v_dual_bitop2_b32 v23, v111, v21 bitop3:0x40
	v_dual_sub_nc_u32 v92, 0, v14 :: v_dual_bitop2_b32 v27, v111, v12 bitop3:0x40
	v_and_b32_e32 v88, v111, v14
	v_cmp_lt_i32_e64 s13, -1, v16
	s_delay_alu instid0(VALU_DEP_4)
	v_cmp_lt_i32_e64 s14, -1, v23
	v_add_nc_u64_e32 v[18:19], v[2:3], v[18:19]
	v_mov_b32_e32 v3, v13
	v_cmp_lt_i32_e64 s15, -1, v27
	v_cmp_lt_i32_e64 s16, -1, v88
	v_dual_cndmask_b32 v78, v22, v20, s13 :: v_dual_bitop2_b32 v16, v111, v17 bitop3:0x40
	v_sub_nc_u32_e32 v18, 0, v17
	s_delay_alu instid0(VALU_DEP_4) | instskip(NEXT) | instid1(VALU_DEP_4)
	v_dual_cndmask_b32 v90, v26, v21, s14 :: v_dual_cndmask_b32 v94, v76, v12, s15
	v_cndmask_b32_e64 v122, v92, v14, s16
	s_delay_alu instid0(VALU_DEP_4)
	v_mul_u64_e32 v[12:13], s[24:25], v[78:79]
	v_cmp_lt_i32_e64 s17, -1, v16
	v_add_nc_u64_e32 v[8:9], v[2:3], v[8:9]
	v_mov_b32_e32 v3, v15
	v_mul_u64_e32 v[14:15], s[24:25], v[90:91]
	v_mul_u64_e32 v[20:21], s[24:25], v[94:95]
	v_dual_cndmask_b32 v76, v18, v17, s17 :: v_dual_bitop2_b32 v8, v111, v19 bitop3:0x40
	v_sub_nc_u32_e32 v12, 0, v19
	v_mul_u64_e32 v[22:23], s[24:25], v[122:123]
	v_add_nc_u64_e32 v[10:11], v[2:3], v[10:11]
	s_delay_alu instid0(VALU_DEP_4) | instskip(SKIP_2) | instid1(VALU_DEP_4)
	v_mul_u64_e32 v[16:17], s[24:25], v[76:77]
	v_cmp_lt_i32_e64 s18, -1, v8
	v_dual_sub_nc_u32 v8, 0, v9 :: v_dual_bitop2_b32 v3, v111, v9 bitop3:0x40
	v_and_b32_e32 v10, v111, v11
	s_delay_alu instid0(VALU_DEP_3) | instskip(NEXT) | instid1(VALU_DEP_3)
	v_cndmask_b32_e64 v88, v12, v19, s18
	v_cmp_lt_i32_e64 s19, -1, v3
	v_sub_nc_u32_e32 v12, 0, v11
	s_delay_alu instid0(VALU_DEP_4) | instskip(NEXT) | instid1(VALU_DEP_4)
	v_cmp_lt_i32_e64 s20, -1, v10
	v_mul_u64_e32 v[18:19], s[24:25], v[88:89]
	s_delay_alu instid0(VALU_DEP_4) | instskip(SKIP_3) | instid1(VALU_DEP_4)
	v_cndmask_b32_e64 v92, v8, v9, s19
	v_mul_lo_u32 v3, s75, v13
	v_mul_lo_u32 v8, s75, v15
	v_cndmask_b32_e64 v124, v12, v11, s20
	v_mul_u64_e32 v[10:11], s[24:25], v[92:93]
	v_mul_lo_u32 v9, s75, v21
	v_mul_lo_u32 v10, s75, v23
	;; [unrolled: 1-line block ×3, first 2 shown]
	v_sub_nc_u32_e32 v3, v78, v3
	v_sub_nc_u32_e32 v8, v90, v8
	v_mul_u64_e32 v[26:27], s[24:25], v[124:125]
	s_delay_alu instid0(VALU_DEP_3) | instskip(NEXT) | instid1(VALU_DEP_1)
	v_cmp_le_u32_e64 s21, s75, v3
	v_add_co_ci_u32_e64 v3, null, 0, v13, s21
	v_sub_nc_u32_e32 v9, v94, v9
	v_cmp_le_u32_e64 s21, s75, v8
	v_mul_lo_u32 v14, s75, v19
	v_sub_nc_u32_e32 v8, v76, v12
	s_delay_alu instid0(VALU_DEP_3) | instskip(SKIP_2) | instid1(VALU_DEP_3)
	v_add_co_ci_u32_e64 v13, null, 0, v15, s21
	v_sub_nc_u32_e32 v10, v122, v10
	v_cmp_le_u32_e64 s21, s75, v9
	v_sub_nc_u32_e32 v12, 0, v13
	s_delay_alu instid0(VALU_DEP_2) | instskip(NEXT) | instid1(VALU_DEP_4)
	v_add_co_ci_u32_e64 v9, null, 0, v21, s21
	v_cmp_le_u32_e64 s21, s75, v10
	v_mul_lo_u32 v16, s75, v11
	v_dual_sub_nc_u32 v10, 0, v3 :: v_dual_sub_nc_u32 v22, v88, v14
	s_delay_alu instid0(VALU_DEP_3) | instskip(SKIP_1) | instid1(VALU_DEP_3)
	v_add_co_ci_u32_e64 v15, null, 0, v23, s21
	v_cmp_le_u32_e64 s21, s75, v8
	v_dual_sub_nc_u32 v18, 0, v9 :: v_dual_cndmask_b32 v8, v10, v3, s13
	s_delay_alu instid0(VALU_DEP_3) | instskip(NEXT) | instid1(VALU_DEP_3)
	v_dual_sub_nc_u32 v20, 0, v15 :: v_dual_cndmask_b32 v10, v12, v13, s14
	v_add_co_ci_u32_e64 v17, null, 0, v17, s21
	s_delay_alu instid0(VALU_DEP_2) | instskip(SKIP_1) | instid1(VALU_DEP_3)
	v_dual_cndmask_b32 v12, v18, v9, s15 :: v_dual_cndmask_b32 v14, v20, v15, s16
	v_cmp_le_u32_e64 s13, s75, v22
	v_dual_sub_nc_u32 v3, 0, v17 :: v_dual_sub_nc_u32 v15, v92, v16
	v_mul_lo_u32 v21, s75, v27
	s_delay_alu instid0(VALU_DEP_3) | instskip(NEXT) | instid1(VALU_DEP_3)
	v_add_co_ci_u32_e64 v13, null, 0, v19, s13
	v_cmp_le_u32_e64 s13, s75, v15
	s_delay_alu instid0(VALU_DEP_2) | instskip(NEXT) | instid1(VALU_DEP_2)
	v_sub_nc_u32_e32 v16, 0, v13
	v_add_co_ci_u32_e64 v15, null, 0, v11, s13
	v_cndmask_b32_e64 v9, v3, v17, s17
	s_delay_alu instid0(VALU_DEP_2) | instskip(NEXT) | instid1(VALU_DEP_1)
	v_dual_cndmask_b32 v11, v16, v13, s18 :: v_dual_sub_nc_u32 v13, 0, v15
	v_dual_sub_nc_u32 v3, v124, v21 :: v_dual_cndmask_b32 v13, v13, v15, s19
	s_delay_alu instid0(VALU_DEP_1) | instskip(NEXT) | instid1(VALU_DEP_1)
	v_cmp_le_u32_e64 s13, s75, v3
	v_add_co_ci_u32_e64 v3, null, 0, v27, s13
	s_delay_alu instid0(VALU_DEP_1) | instskip(NEXT) | instid1(VALU_DEP_1)
	v_sub_nc_u32_e32 v16, 0, v3
	v_cndmask_b32_e64 v15, v16, v3, s20
	s_clause 0x1
	global_store_b128 v[62:63], v[8:11], off th:TH_STORE_NT
	global_store_b128 v[62:63], v[12:15], off offset:512 th:TH_STORE_NT
	s_clause 0x1
	global_store_b128 v[74:75], v[8:11], off th:TH_STORE_NT
	global_store_b128 v[74:75], v[12:15], off offset:512 th:TH_STORE_NT
	s_wait_xcnt 0x2
	v_add_nc_u64_e32 v[62:63], v[62:63], v[82:83]
	s_wait_xcnt 0x0
	v_add_nc_u64_e32 v[74:75], v[74:75], v[82:83]
	s_and_not1_b32 exec_lo, exec_lo, s78
	s_cbranch_execnz .LBB4_572
; %bb.573:                              ;   in Loop: Header=BB4_495 Depth=2
	s_or_b32 exec_lo, exec_lo, s78
.LBB4_574:                              ;   in Loop: Header=BB4_495 Depth=2
	s_delay_alu instid0(SALU_CYCLE_1) | instskip(SKIP_2) | instid1(VALU_DEP_1)
	s_or_b32 exec_lo, exec_lo, s77
	v_lshlrev_b32_e32 v20, 10, v121
	s_mov_b32 s18, exec_lo
                                        ; implicit-def: $vgpr16
                                        ; implicit-def: $vgpr3
                                        ; implicit-def: $vgpr17
	v_cmpx_ne_u32_e64 v43, v20
	s_cbranch_execz .LBB4_582
; %bb.575:                              ;   in Loop: Header=BB4_495 Depth=2
	v_sub_nc_u32_e32 v9, v43, v20
	v_lshlrev_b32_e32 v3, 5, v120
	s_mov_b32 s19, exec_lo
	s_delay_alu instid0(VALU_DEP_1) | instskip(NEXT) | instid1(VALU_DEP_1)
	v_dual_ashrrev_i32 v10, 31, v9 :: v_dual_sub_nc_u32 v3, v105, v3
	v_dual_lshrrev_b32 v10, 23, v10 :: v_dual_ashrrev_i32 v8, 31, v3
	s_delay_alu instid0(VALU_DEP_1) | instskip(NEXT) | instid1(VALU_DEP_1)
	v_lshrrev_b32_e32 v8, 27, v8
	v_add_nc_u32_e32 v8, v3, v8
	s_delay_alu instid0(VALU_DEP_1) | instskip(NEXT) | instid1(VALU_DEP_1)
	v_and_b32_e32 v11, 0xffffffe0, v8
	v_sub_nc_u32_e32 v21, v3, v11
	s_delay_alu instid0(VALU_DEP_1) | instskip(SKIP_1) | instid1(VALU_DEP_2)
	v_dual_lshlrev_b32 v3, 4, v21 :: v_dual_add_nc_u32 v10, v9, v10
	v_ashrrev_i32_e32 v8, 5, v8
	v_and_b32_e32 v22, 0xfffffe00, v10
	s_delay_alu instid0(VALU_DEP_2) | instskip(SKIP_1) | instid1(VALU_DEP_2)
	v_lshl_add_u32 v3, v8, 9, v3
	v_ashrrev_i32_e32 v10, 9, v10
	v_dual_sub_nc_u32 v23, v9, v22 :: v_dual_sub_nc_u32 v61, v9, v3
	s_delay_alu instid0(VALU_DEP_1) | instskip(NEXT) | instid1(VALU_DEP_1)
	v_cmp_lt_i32_e64 s13, 15, v23
	v_add_co_ci_u32_e64 v10, null, 0, v10, s13
	s_delay_alu instid0(VALU_DEP_1) | instskip(NEXT) | instid1(VALU_DEP_4)
	v_sub_nc_u32_e32 v60, v10, v8
	v_cmpx_lt_i32_e32 15, v61
	s_cbranch_execz .LBB4_581
; %bb.576:                              ;   in Loop: Header=BB4_495 Depth=2
	s_cvt_f32_u32 s14, s75
	s_trap 2
	s_sub_co_i32 s15, 0, s75
	v_add_nc_u32_e32 v10, v3, v20
	v_rcp_iflag_f32_e32 v8, s14
	s_mov_b32 s20, 0
	s_delay_alu instid0(VALU_DEP_1) | instskip(NEXT) | instid1(TRANS32_DEP_1)
	v_ashrrev_i32_e32 v11, 31, v10
	v_readfirstlane_b32 s14, v8
	ds_load_b64 v[8:9], v0
	v_add_nc_u64_e32 v[12:13], v[10:11], v[56:57]
	v_add_nc_u64_e32 v[14:15], v[10:11], v[46:47]
	v_add_nc_u64_e32 v[18:19], v[10:11], v[58:59]
	s_mul_f32 s14, s14, 0x4f7ffffe
	s_delay_alu instid0(SALU_CYCLE_3) | instskip(NEXT) | instid1(SALU_CYCLE_3)
	s_cvt_u32_f32 s14, s14
	s_mul_i32 s15, s15, s14
	s_delay_alu instid0(SALU_CYCLE_1) | instskip(NEXT) | instid1(SALU_CYCLE_1)
	s_mul_hi_u32 s15, s14, s15
	s_add_co_i32 s14, s14, s15
	s_delay_alu instid0(SALU_CYCLE_1)
	s_mul_hi_u32 s14, s14, -1
	s_wait_dscnt 0x0
	v_add_nc_u64_e32 v[16:17], v[8:9], v[10:11]
	s_mul_i32 s15, s14, s75
	s_add_co_i32 s16, s14, 1
	s_not_b32 s15, s15
	s_delay_alu instid0(SALU_CYCLE_1)
	s_sub_co_i32 s17, s15, s75
	s_cmp_ge_u32 s15, s75
	s_cselect_b32 s14, s16, s14
	s_cselect_b32 s15, s17, s15
	s_add_co_i32 s16, s14, 1
	s_cmp_ge_u32 s15, s75
	s_cselect_b32 s24, s16, s14
.LBB4_577:                              ;   Parent Loop BB4_47 Depth=1
                                        ;     Parent Loop BB4_495 Depth=2
                                        ; =>    This Loop Header: Depth=3
                                        ;         Child Loop BB4_578 Depth 4
	global_load_b128 v[8:11], v[16:17], off th:TH_LOAD_NT
	global_load_b128 v[72:75], v[12:13], off th:TH_LOAD_NT
	v_dual_mov_b32 v26, v2 :: v_dual_mov_b32 v63, v2
	v_dual_mov_b32 v77, v2 :: v_dual_mov_b32 v79, v2
	s_mov_b32 s21, -1
	s_wait_loadcnt 0x0
	v_dual_mov_b32 v3, v9 :: v_dual_add_nc_u32 v8, v8, v72
	v_add_nc_u32_e32 v76, v10, v74
	v_dual_mov_b32 v9, v2 :: v_dual_mov_b32 v27, v11
	s_delay_alu instid0(VALU_DEP_3) | instskip(NEXT) | instid1(VALU_DEP_4)
	v_add_nc_u64_e32 v[10:11], v[2:3], v[72:73]
	v_and_b32_e32 v3, v111, v8
	s_delay_alu instid0(VALU_DEP_4) | instskip(NEXT) | instid1(VALU_DEP_4)
	v_dual_sub_nc_u32 v73, 0, v76 :: v_dual_bitop2_b32 v72, v111, v76 bitop3:0x40
	v_add_nc_u64_e32 v[26:27], v[26:27], v[74:75]
	v_sub_nc_u32_e32 v10, 0, v8
	s_delay_alu instid0(VALU_DEP_4) | instskip(NEXT) | instid1(VALU_DEP_4)
	v_cmp_lt_i32_e32 vcc_lo, -1, v3
	v_cmp_lt_i32_e64 s14, -1, v72
	s_delay_alu instid0(VALU_DEP_3) | instskip(NEXT) | instid1(VALU_DEP_2)
	v_dual_cndmask_b32 v62, v10, v8, vcc_lo :: v_dual_bitop2_b32 v3, v111, v11 bitop3:0x40
	v_dual_sub_nc_u32 v8, 0, v11 :: v_dual_cndmask_b32 v78, v73, v76, s14
	v_dual_sub_nc_u32 v26, 0, v27 :: v_dual_bitop2_b32 v10, v111, v27 bitop3:0x40
	s_delay_alu instid0(VALU_DEP_3) | instskip(NEXT) | instid1(VALU_DEP_4)
	v_cmp_lt_i32_e64 s15, -1, v3
	v_mul_u64_e32 v[72:73], s[24:25], v[62:63]
	s_delay_alu instid0(VALU_DEP_4) | instskip(NEXT) | instid1(VALU_DEP_4)
	v_mul_u64_e32 v[74:75], s[24:25], v[78:79]
	v_cmp_lt_i32_e64 s16, -1, v10
	s_delay_alu instid0(VALU_DEP_4) | instskip(NEXT) | instid1(VALU_DEP_2)
	v_cndmask_b32_e64 v76, v8, v11, s15
	v_cndmask_b32_e64 v8, v26, v27, s16
	s_delay_alu instid0(VALU_DEP_1) | instskip(SKIP_2) | instid1(VALU_DEP_2)
	v_mul_u64_e32 v[26:27], s[24:25], v[8:9]
	v_mul_lo_u32 v3, s75, v73
	v_mul_lo_u32 v9, s75, v75
	v_sub_nc_u32_e32 v3, v62, v3
	s_delay_alu instid0(VALU_DEP_4) | instskip(NEXT) | instid1(VALU_DEP_3)
	v_mul_lo_u32 v26, s75, v27
	v_sub_nc_u32_e32 v9, v78, v9
	s_delay_alu instid0(VALU_DEP_3) | instskip(NEXT) | instid1(VALU_DEP_1)
	v_cmp_le_u32_e64 s17, s75, v3
	v_add_co_ci_u32_e64 v3, null, 0, v73, s17
	s_delay_alu instid0(VALU_DEP_4) | instskip(SKIP_2) | instid1(VALU_DEP_1)
	v_sub_nc_u32_e32 v8, v8, v26
	v_mul_u64_e32 v[10:11], s[24:25], v[76:77]
	v_cmp_le_u32_e64 s17, s75, v9
	v_add_co_ci_u32_e64 v9, null, 0, v75, s17
	s_delay_alu instid0(VALU_DEP_3) | instskip(NEXT) | instid1(VALU_DEP_1)
	v_mul_lo_u32 v10, s75, v11
	v_sub_nc_u32_e32 v10, v76, v10
	s_delay_alu instid0(VALU_DEP_1) | instskip(NEXT) | instid1(VALU_DEP_4)
	v_cmp_le_u32_e64 s17, s75, v10
	v_sub_nc_u32_e32 v10, 0, v9
	s_delay_alu instid0(VALU_DEP_2) | instskip(SKIP_1) | instid1(VALU_DEP_3)
	v_add_co_ci_u32_e64 v11, null, 0, v11, s17
	v_cmp_le_u32_e64 s17, s75, v8
	v_cndmask_b32_e64 v10, v10, v9, s14
	s_delay_alu instid0(VALU_DEP_2) | instskip(SKIP_1) | instid1(VALU_DEP_2)
	v_add_co_ci_u32_e64 v26, null, 0, v27, s17
	v_sub_nc_u32_e32 v8, 0, v3
	v_dual_sub_nc_u32 v27, 0, v11 :: v_dual_sub_nc_u32 v62, 0, v26
	s_delay_alu instid0(VALU_DEP_2) | instskip(NEXT) | instid1(VALU_DEP_2)
	v_cndmask_b32_e32 v8, v8, v3, vcc_lo
	v_dual_cndmask_b32 v9, v27, v11, s15 :: v_dual_cndmask_b32 v11, v62, v26, s16
	s_mov_b64 s[16:17], 0
.LBB4_578:                              ;   Parent Loop BB4_47 Depth=1
                                        ;     Parent Loop BB4_495 Depth=2
                                        ;       Parent Loop BB4_577 Depth=3
                                        ; =>      This Inner Loop Header: Depth=4
	s_delay_alu instid0(SALU_CYCLE_1)
	s_cmp_eq_u32 s16, 1
	s_cselect_b32 vcc_lo, -1, 0
	s_cmp_eq_u32 s16, 0
	s_wait_xcnt 0x0
	v_dual_cndmask_b32 v27, v15, v19 :: v_dual_cndmask_b32 v26, v14, v18
	s_cselect_b32 s14, -1, 0
	s_and_b32 s15, exec_lo, s21
	s_mov_b64 s[16:17], 1
	s_mov_b32 s21, 0
	v_add_nc_u64_e32 v[62:63], 0x200, v[26:27]
	global_store_b128 v[26:27], v[8:11], off th:TH_STORE_NT
	v_dual_cndmask_b32 v19, v19, v63 :: v_dual_cndmask_b32 v18, v18, v62
	v_dual_cndmask_b32 v15, v15, v63, s14 :: v_dual_cndmask_b32 v14, v14, v62, s14
	s_mov_b32 vcc_lo, s15
	s_cbranch_vccnz .LBB4_578
; %bb.579:                              ;   in Loop: Header=BB4_577 Depth=3
	v_sub_nc_u32_e32 v61, v61, v68
	s_wait_xcnt 0x1
	v_add_nc_u64_e32 v[12:13], v[12:13], v[100:101]
	v_add_nc_u64_e32 v[16:17], v[16:17], v[100:101]
	;; [unrolled: 1-line block ×4, first 2 shown]
	v_cmp_gt_i32_e32 vcc_lo, 16, v61
	v_sub_nc_u32_e32 v60, v60, v52
	s_or_b32 s20, vcc_lo, s20
	s_wait_xcnt 0x0
	s_and_not1_b32 exec_lo, exec_lo, s20
	s_cbranch_execnz .LBB4_577
; %bb.580:                              ;   in Loop: Header=BB4_495 Depth=2
	s_or_b32 exec_lo, exec_lo, s20
.LBB4_581:                              ;   in Loop: Header=BB4_495 Depth=2
	s_delay_alu instid0(SALU_CYCLE_1) | instskip(NEXT) | instid1(VALU_DEP_2)
	s_or_b32 exec_lo, exec_lo, s19
	v_cmp_lt_i32_e32 vcc_lo, 0, v60
	v_dual_cndmask_b32 v8, 0, v52, vcc_lo :: v_dual_bitop2_b32 v3, 12, v43 bitop3:0x40
	s_delay_alu instid0(VALU_DEP_1) | instskip(NEXT) | instid1(VALU_DEP_1)
	v_dual_sub_nc_u32 v9, v23, v3 :: v_dual_cndmask_b32 v16, v23, v3, s13
	v_dual_sub_nc_u32 v3, v8, v60 :: v_dual_cndmask_b32 v8, 0, v9, s13
	s_delay_alu instid0(VALU_DEP_2) | instskip(SKIP_1) | instid1(VALU_DEP_2)
	v_cmp_ne_u32_e32 vcc_lo, 0, v16
	s_and_not1_b32 s13, s76, exec_lo
	v_lshl_add_u32 v17, v3, 5, v21
	s_delay_alu instid0(VALU_DEP_3) | instskip(SKIP_1) | instid1(SALU_CYCLE_1)
	v_add3_u32 v3, v22, v20, v8
	s_and_b32 s14, vcc_lo, exec_lo
	s_or_b32 s76, s13, s14
.LBB4_582:                              ;   in Loop: Header=BB4_495 Depth=2
	s_or_b32 exec_lo, exec_lo, s18
	s_and_saveexec_b32 s18, s76
	s_cbranch_execnz .LBB4_590
	s_branch .LBB4_600
.LBB4_583:                              ;   in Loop: Header=BB4_495 Depth=2
	s_mov_b32 s13, 0
	s_and_saveexec_b32 s14, s2
	s_cbranch_execnz .LBB4_631
.LBB4_584:                              ;   in Loop: Header=BB4_495 Depth=2
	s_or_b32 exec_lo, exec_lo, s14
                                        ; implicit-def: $vgpr3
	s_and_saveexec_b32 s14, s12
	s_delay_alu instid0(SALU_CYCLE_1)
	s_xor_b32 s14, exec_lo, s14
	s_cbranch_execz .LBB4_649
.LBB4_585:                              ;   in Loop: Header=BB4_495 Depth=2
	v_and_b32_e32 v3, 16, v30
	s_delay_alu instid0(VALU_DEP_1) | instskip(SKIP_2) | instid1(SALU_CYCLE_1)
	v_cmp_ne_u32_e32 vcc_lo, 0, v3
	v_and_b32_e32 v3, 16, v30
	s_and_b32 s15, vcc_lo, s13
	s_and_saveexec_b32 s13, s15
	s_cbranch_execz .LBB4_587
; %bb.586:                              ;   in Loop: Header=BB4_495 Depth=2
	v_mov_b32_e32 v3, 1
	global_wb scope:SCOPE_SYS
	s_wait_storecnt 0x0
	s_wait_loadcnt_dscnt 0x0
	global_inv scope:SCOPE_SYS
.LBB4_587:                              ;   in Loop: Header=BB4_495 Depth=2
	s_or_b32 exec_lo, exec_lo, s13
	s_and_not1_saveexec_b32 s13, s14
	s_cbranch_execz .LBB4_668
	s_branch .LBB4_650
.LBB4_588:                              ;   in Loop: Header=BB4_495 Depth=2
	s_mov_b32 s76, 0
                                        ; implicit-def: $vgpr111
                                        ; implicit-def: $sgpr75
	v_mov_b32_e32 v3, 0
	s_and_not1_b32 vcc_lo, exec_lo, s13
	s_cbranch_vccz .LBB4_570
.LBB4_589:                              ;   in Loop: Header=BB4_495 Depth=2
	v_dual_mov_b32 v16, v43 :: v_dual_mov_b32 v17, v0
	s_and_saveexec_b32 s18, s76
	s_cbranch_execz .LBB4_600
.LBB4_590:                              ;   in Loop: Header=BB4_495 Depth=2
	s_delay_alu instid0(VALU_DEP_1) | instskip(SKIP_1) | instid1(VALU_DEP_1)
	v_dual_ashrrev_i32 v8, 31, v17 :: v_dual_ashrrev_i32 v9, 31, v16
	s_mov_b32 s19, exec_lo
	v_dual_lshrrev_b32 v8, 27, v8 :: v_dual_lshrrev_b32 v9, 23, v9
	s_delay_alu instid0(VALU_DEP_1) | instskip(NEXT) | instid1(VALU_DEP_1)
	v_dual_add_nc_u32 v8, v17, v8 :: v_dual_add_nc_u32 v9, v16, v9
	v_dual_ashrrev_i32 v18, 5, v8 :: v_dual_ashrrev_i32 v20, 9, v9
	s_delay_alu instid0(VALU_DEP_1) | instskip(NEXT) | instid1(VALU_DEP_1)
	v_sub_nc_u32_e32 v19, v20, v18
	v_cmpx_lt_i32_e32 0, v19
	s_cbranch_execz .LBB4_594
; %bb.591:                              ;   in Loop: Header=BB4_495 Depth=2
	s_cvt_f32_u32 s13, s75
	v_and_b32_e32 v8, 0x3fffffe0, v8
	s_trap 2
	ds_load_b64 v[10:11], v0
	v_rcp_iflag_f32_e32 v9, s13
	s_sub_co_i32 s14, 0, s75
	v_dual_sub_nc_u32 v8, v17, v8 :: v_dual_lshlrev_b32 v12, 9, v18
	s_mov_b32 s20, 0
	s_delay_alu instid0(VALU_DEP_1) | instskip(NEXT) | instid1(TRANS32_DEP_1)
	v_lshlrev_b32_e32 v8, 2, v8
	v_readfirstlane_b32 s13, v9
	s_delay_alu instid0(VALU_DEP_2) | instskip(SKIP_1) | instid1(SALU_CYCLE_3)
	v_add3_u32 v14, v8, v3, v12
	s_mul_f32 s13, s13, 0x4f7ffffe
	s_cvt_u32_f32 s13, s13
	s_delay_alu instid0(VALU_DEP_1) | instskip(NEXT) | instid1(SALU_CYCLE_2)
	v_ashrrev_i32_e32 v15, 31, v14
	s_mul_i32 s14, s14, s13
	s_delay_alu instid0(SALU_CYCLE_1) | instskip(NEXT) | instid1(VALU_DEP_1)
	s_mul_hi_u32 s14, s13, s14
	v_add_nc_u64_e32 v[8:9], v[14:15], v[56:57]
	s_add_co_i32 s13, s13, s14
	s_wait_dscnt 0x0
	v_add_nc_u64_e32 v[10:11], v[10:11], v[14:15]
	s_mul_hi_u32 s13, s13, -1
	v_add_nc_u64_e32 v[12:13], v[14:15], v[46:47]
	s_mul_i32 s14, s13, s75
	s_add_co_i32 s15, s13, 1
	s_not_b32 s14, s14
	v_add_nc_u64_e32 v[14:15], v[14:15], v[58:59]
	s_sub_co_i32 s16, s14, s75
	s_cmp_ge_u32 s14, s75
	s_cselect_b32 s13, s15, s13
	s_cselect_b32 s14, s16, s14
	s_add_co_i32 s15, s13, 1
	s_cmp_ge_u32 s14, s75
	s_cselect_b32 s24, s15, s13
.LBB4_592:                              ;   Parent Loop BB4_47 Depth=1
                                        ;     Parent Loop BB4_495 Depth=2
                                        ; =>    This Inner Loop Header: Depth=3
	flat_load_b32 v21, v[10:11] th:TH_LOAD_NT
	s_clause 0x3
	flat_load_b32 v22, v[8:9] th:TH_LOAD_NT
	flat_load_b32 v26, v[8:9] offset:128 th:TH_LOAD_NT
	flat_load_b32 v60, v[8:9] offset:256 th:TH_LOAD_NT
	;; [unrolled: 1-line block ×3, first 2 shown]
	s_clause 0x2
	flat_load_b32 v72, v[10:11] offset:128 th:TH_LOAD_NT
	flat_load_b32 v73, v[10:11] offset:256 th:TH_LOAD_NT
	;; [unrolled: 1-line block ×3, first 2 shown]
	v_dual_mov_b32 v23, v2 :: v_dual_mov_b32 v27, v2
	v_dual_mov_b32 v61, v2 :: v_dual_mov_b32 v63, v2
	s_wait_xcnt 0x3
	v_add_nc_u64_e32 v[8:9], v[8:9], v[68:69]
	s_wait_xcnt 0x0
	v_add_nc_u64_e32 v[10:11], v[10:11], v[68:69]
	s_wait_loadcnt_dscnt 0x101
	v_dual_add_nc_u32 v26, v72, v26 :: v_dual_add_nc_u32 v60, v73, v60
	s_delay_alu instid0(VALU_DEP_1) | instskip(SKIP_1) | instid1(VALU_DEP_1)
	v_dual_add_nc_u32 v21, v21, v22 :: v_dual_bitop2_b32 v73, v26, v111 bitop3:0x40
	s_wait_loadcnt_dscnt 0x0
	v_dual_add_nc_u32 v62, v74, v62 :: v_dual_bitop2_b32 v22, v21, v111 bitop3:0x40
	v_dual_sub_nc_u32 v72, 0, v21 :: v_dual_sub_nc_u32 v74, 0, v26
	s_delay_alu instid0(VALU_DEP_3) | instskip(SKIP_1) | instid1(VALU_DEP_4)
	v_cmp_lt_i32_e64 s13, -1, v73
	v_dual_sub_nc_u32 v76, 0, v60 :: v_dual_bitop2_b32 v75, v60, v111 bitop3:0x40
	v_cmp_lt_i32_e32 vcc_lo, -1, v22
	v_dual_sub_nc_u32 v78, 0, v62 :: v_dual_bitop2_b32 v77, v62, v111 bitop3:0x40
	s_delay_alu instid0(VALU_DEP_4) | instskip(NEXT) | instid1(VALU_DEP_4)
	v_cndmask_b32_e64 v26, v74, v26, s13
	v_cmp_lt_i32_e64 s14, -1, v75
	v_cndmask_b32_e32 v22, v72, v21, vcc_lo
	s_delay_alu instid0(VALU_DEP_4) | instskip(NEXT) | instid1(VALU_DEP_4)
	v_cmp_lt_i32_e64 s15, -1, v77
	v_mul_u64_e32 v[74:75], s[24:25], v[26:27]
	s_delay_alu instid0(VALU_DEP_4) | instskip(NEXT) | instid1(VALU_DEP_4)
	v_cndmask_b32_e64 v60, v76, v60, s14
	v_mul_u64_e32 v[72:73], s[24:25], v[22:23]
	s_delay_alu instid0(VALU_DEP_4) | instskip(NEXT) | instid1(VALU_DEP_3)
	v_cndmask_b32_e64 v62, v78, v62, s15
	v_mul_u64_e32 v[76:77], s[24:25], v[60:61]
	s_delay_alu instid0(VALU_DEP_2)
	v_mul_u64_e32 v[78:79], s[24:25], v[62:63]
	v_mul_lo_u32 v23, s75, v75
	v_mul_lo_u32 v21, s75, v73
	v_sub_nc_u32_e32 v19, v19, v52
	v_mul_lo_u32 v27, s75, v77
	v_mul_lo_u32 v61, s75, v79
	s_delay_alu instid0(VALU_DEP_4) | instskip(NEXT) | instid1(VALU_DEP_4)
	v_sub_nc_u32_e32 v21, v22, v21
	v_cmp_gt_i32_e64 s16, 1, v19
	s_delay_alu instid0(VALU_DEP_2) | instskip(SKIP_4) | instid1(VALU_DEP_3)
	v_cmp_le_u32_e64 s17, s75, v21
	s_or_b32 s20, s16, s20
	v_add_co_ci_u32_e64 v21, null, 0, v73, s17
	v_sub_nc_u32_e32 v22, v26, v23
	v_dual_sub_nc_u32 v23, v60, v27 :: v_dual_sub_nc_u32 v26, v62, v61
	v_sub_nc_u32_e32 v27, 0, v21
	s_delay_alu instid0(VALU_DEP_3) | instskip(NEXT) | instid1(VALU_DEP_2)
	v_cmp_le_u32_e64 s17, s75, v22
	v_cndmask_b32_e32 v21, v27, v21, vcc_lo
	s_delay_alu instid0(VALU_DEP_2) | instskip(SKIP_1) | instid1(VALU_DEP_1)
	v_add_co_ci_u32_e64 v22, null, 0, v75, s17
	v_cmp_le_u32_e64 s17, s75, v23
	v_add_co_ci_u32_e64 v23, null, 0, v77, s17
	v_cmp_le_u32_e64 s17, s75, v26
	s_delay_alu instid0(VALU_DEP_2) | instskip(NEXT) | instid1(VALU_DEP_2)
	v_dual_sub_nc_u32 v60, 0, v22 :: v_dual_sub_nc_u32 v61, 0, v23
	v_add_co_ci_u32_e64 v26, null, 0, v79, s17
	s_delay_alu instid0(VALU_DEP_2) | instskip(NEXT) | instid1(VALU_DEP_2)
	v_dual_cndmask_b32 v22, v60, v22, s13 :: v_dual_cndmask_b32 v23, v61, v23, s14
	v_sub_nc_u32_e32 v62, 0, v26
	s_delay_alu instid0(VALU_DEP_1)
	v_cndmask_b32_e64 v26, v62, v26, s15
	s_clause 0x3
	flat_store_b32 v[12:13], v21 th:TH_STORE_NT
	flat_store_b32 v[12:13], v22 offset:128 th:TH_STORE_NT
	flat_store_b32 v[12:13], v23 offset:256 th:TH_STORE_NT
	;; [unrolled: 1-line block ×3, first 2 shown]
	s_clause 0x3
	flat_store_b32 v[14:15], v21 th:TH_STORE_NT
	flat_store_b32 v[14:15], v22 offset:128 th:TH_STORE_NT
	flat_store_b32 v[14:15], v23 offset:256 th:TH_STORE_NT
	;; [unrolled: 1-line block ×3, first 2 shown]
	s_wait_xcnt 0x4
	v_add_nc_u64_e32 v[12:13], v[12:13], v[68:69]
	s_wait_xcnt 0x0
	v_add_nc_u64_e32 v[14:15], v[14:15], v[68:69]
	s_and_not1_b32 exec_lo, exec_lo, s20
	s_cbranch_execnz .LBB4_592
; %bb.593:                              ;   in Loop: Header=BB4_495 Depth=2
	s_or_b32 exec_lo, exec_lo, s20
.LBB4_594:                              ;   in Loop: Header=BB4_495 Depth=2
	s_delay_alu instid0(SALU_CYCLE_1) | instskip(SKIP_1) | instid1(VALU_DEP_1)
	s_or_b32 exec_lo, exec_lo, s19
	v_lshlrev_b32_e32 v8, 9, v20
	v_cmp_ne_u32_e32 vcc_lo, v16, v8
	s_and_b32 exec_lo, exec_lo, vcc_lo
	s_cbranch_execz .LBB4_600
; %bb.595:                              ;   in Loop: Header=BB4_495 Depth=2
	v_dual_lshlrev_b32 v9, 5, v18 :: v_dual_lshlrev_b32 v10, 5, v19
	s_delay_alu instid0(VALU_DEP_1) | instskip(NEXT) | instid1(VALU_DEP_1)
	v_sub_nc_u32_e32 v9, v17, v9
	v_sub_nc_u32_e32 v9, v9, v10
	s_delay_alu instid0(VALU_DEP_1) | instskip(NEXT) | instid1(VALU_DEP_1)
	v_ashrrev_i32_e32 v10, 31, v9
	v_lshrrev_b32_e32 v10, 27, v10
	s_delay_alu instid0(VALU_DEP_1) | instskip(NEXT) | instid1(VALU_DEP_1)
	v_add_nc_u32_e32 v10, v9, v10
	v_and_b32_e32 v11, 0x3fffffe0, v10
	s_delay_alu instid0(VALU_DEP_1) | instskip(NEXT) | instid1(VALU_DEP_1)
	v_dual_lshlrev_b32 v10, 2, v10 :: v_dual_sub_nc_u32 v9, v9, v11
	v_and_b32_e32 v10, 0xffffff80, v10
	s_delay_alu instid0(VALU_DEP_2) | instskip(NEXT) | instid1(VALU_DEP_1)
	v_lshlrev_b32_e32 v9, 2, v9
	v_add3_u32 v8, v10, v9, v8
	s_delay_alu instid0(VALU_DEP_1) | instskip(NEXT) | instid1(VALU_DEP_1)
	v_sub_nc_u32_e32 v16, v16, v8
	v_cmp_lt_i32_e32 vcc_lo, 3, v16
	s_and_b32 exec_lo, exec_lo, vcc_lo
	s_cbranch_execz .LBB4_600
; %bb.596:                              ;   in Loop: Header=BB4_495 Depth=2
	s_cvt_f32_u32 s13, s75
	s_trap 2
	ds_load_b64 v[12:13], v0
	s_sub_co_i32 s14, 0, s75
	v_rcp_iflag_f32_e32 v9, s13
	v_add_nc_u32_e32 v14, v8, v3
	s_delay_alu instid0(VALU_DEP_1) | instskip(NEXT) | instid1(TRANS32_DEP_1)
	v_ashrrev_i32_e32 v15, 31, v14
	v_readfirstlane_b32 s13, v9
	s_delay_alu instid0(VALU_DEP_2) | instskip(SKIP_2) | instid1(SALU_CYCLE_2)
	v_add_nc_u64_e32 v[8:9], v[14:15], v[56:57]
	s_mul_f32 s13, s13, 0x4f7ffffe
	v_add_nc_u64_e32 v[10:11], v[14:15], v[46:47]
	s_cvt_u32_f32 s13, s13
	s_wait_dscnt 0x0
	v_add_nc_u64_e32 v[12:13], v[12:13], v[14:15]
	v_add_nc_u64_e32 v[14:15], v[14:15], v[58:59]
	s_mul_i32 s14, s14, s13
	s_delay_alu instid0(SALU_CYCLE_1) | instskip(NEXT) | instid1(SALU_CYCLE_1)
	s_mul_hi_u32 s14, s13, s14
	s_add_co_i32 s13, s13, s14
	s_delay_alu instid0(SALU_CYCLE_1) | instskip(NEXT) | instid1(SALU_CYCLE_1)
	s_mul_hi_u32 s13, s13, -1
	s_mul_i32 s14, s13, s75
	s_add_co_i32 s15, s13, 1
	s_not_b32 s14, s14
	s_delay_alu instid0(SALU_CYCLE_1)
	s_sub_co_i32 s16, s14, s75
	s_cmp_ge_u32 s14, s75
	s_cselect_b32 s13, s15, s13
	s_cselect_b32 s14, s16, s14
	s_add_co_i32 s16, s13, 1
	s_cmp_ge_u32 s14, s75
	s_mov_b32 s15, 0
	s_cselect_b32 s24, s16, s13
.LBB4_597:                              ;   Parent Loop BB4_47 Depth=1
                                        ;     Parent Loop BB4_495 Depth=2
                                        ; =>    This Loop Header: Depth=3
                                        ;         Child Loop BB4_598 Depth 4
	flat_load_b32 v3, v[8:9] th:TH_LOAD_NT
	flat_load_b32 v17, v[12:13] th:TH_LOAD_NT
	s_mov_b64 s[16:17], 0
	s_mov_b32 s19, -1
	s_wait_loadcnt_dscnt 0x0
	v_dual_mov_b32 v19, v2 :: v_dual_add_nc_u32 v3, v17, v3
	s_delay_alu instid0(VALU_DEP_1) | instskip(SKIP_1) | instid1(VALU_DEP_2)
	v_and_b32_e32 v17, v3, v111
	v_sub_nc_u32_e32 v18, 0, v3
	v_cmp_lt_i32_e32 vcc_lo, -1, v17
	s_delay_alu instid0(VALU_DEP_2) | instskip(NEXT) | instid1(VALU_DEP_1)
	v_cndmask_b32_e32 v18, v18, v3, vcc_lo
	v_mul_u64_e32 v[20:21], s[24:25], v[18:19]
	s_delay_alu instid0(VALU_DEP_1) | instskip(NEXT) | instid1(VALU_DEP_1)
	v_mul_lo_u32 v3, s75, v21
	v_sub_nc_u32_e32 v3, v18, v3
	s_delay_alu instid0(VALU_DEP_1) | instskip(NEXT) | instid1(VALU_DEP_1)
	v_cmp_le_u32_e64 s13, s75, v3
	v_add_co_ci_u32_e64 v3, null, 0, v21, s13
	s_delay_alu instid0(VALU_DEP_1) | instskip(NEXT) | instid1(VALU_DEP_1)
	v_sub_nc_u32_e32 v17, 0, v3
	v_cndmask_b32_e32 v3, v17, v3, vcc_lo
.LBB4_598:                              ;   Parent Loop BB4_47 Depth=1
                                        ;     Parent Loop BB4_495 Depth=2
                                        ;       Parent Loop BB4_597 Depth=3
                                        ; =>      This Inner Loop Header: Depth=4
	s_cmp_eq_u32 s16, 1
	s_cselect_b32 vcc_lo, -1, 0
	s_cmp_eq_u32 s16, 0
	s_wait_xcnt 0x0
	v_dual_cndmask_b32 v19, v11, v15 :: v_dual_cndmask_b32 v18, v10, v14
	s_cselect_b32 s13, -1, 0
	s_and_b32 s14, exec_lo, s19
	s_mov_b64 s[16:17], 1
	s_mov_b32 s19, 0
	v_add_nc_u64_e32 v[20:21], 0x80, v[18:19]
	flat_store_b32 v[18:19], v3 th:TH_STORE_NT
	v_dual_cndmask_b32 v15, v15, v21 :: v_dual_cndmask_b32 v14, v14, v20
	v_dual_cndmask_b32 v11, v11, v21, s13 :: v_dual_cndmask_b32 v10, v10, v20, s13
	s_mov_b32 vcc_lo, s14
	s_cbranch_vccnz .LBB4_598
; %bb.599:                              ;   in Loop: Header=BB4_597 Depth=3
	v_sub_nc_u32_e32 v16, v16, v70
	s_wait_xcnt 0x2
	v_add_nc_u64_e32 v[8:9], v[8:9], v[102:103]
	s_wait_xcnt 0x1
	v_add_nc_u64_e32 v[12:13], v[12:13], v[102:103]
	v_add_nc_u64_e32 v[10:11], v[10:11], v[98:99]
	;; [unrolled: 1-line block ×3, first 2 shown]
	v_cmp_gt_i32_e32 vcc_lo, 4, v16
	s_or_b32 s15, vcc_lo, s15
	s_wait_xcnt 0x0
	s_and_not1_b32 exec_lo, exec_lo, s15
	s_cbranch_execnz .LBB4_597
.LBB4_600:                              ;   in Loop: Header=BB4_495 Depth=2
	s_or_b32 exec_lo, exec_lo, s18
	s_mov_b32 s13, 0
.LBB4_601:                              ;   in Loop: Header=BB4_495 Depth=2
	s_delay_alu instid0(SALU_CYCLE_1)
	s_and_b32 vcc_lo, exec_lo, s13
	s_cbranch_vccz .LBB4_619
; %bb.602:                              ;   in Loop: Header=BB4_495 Depth=2
	s_mov_b32 s13, -1
	s_and_saveexec_b32 s14, s11
	s_cbranch_execz .LBB4_604
; %bb.603:                              ;   in Loop: Header=BB4_495 Depth=2
	ds_load_b32 v3, v0 offset:720
	s_wait_dscnt 0x0
	v_and_b32_e32 v3, 15, v3
	s_delay_alu instid0(VALU_DEP_1)
	v_cmp_eq_u32_e32 vcc_lo, 0, v3
	s_or_not1_b32 s13, vcc_lo, exec_lo
.LBB4_604:                              ;   in Loop: Header=BB4_495 Depth=2
	s_or_b32 exec_lo, exec_lo, s14
	s_and_saveexec_b32 s14, s7
	s_cbranch_execz .LBB4_606
; %bb.605:                              ;   in Loop: Header=BB4_495 Depth=2
	ds_load_b32 v3, v0 offset:784
	s_wait_dscnt 0x0
	v_and_b32_e32 v3, 15, v3
	s_delay_alu instid0(VALU_DEP_1) | instskip(SKIP_3) | instid1(SALU_CYCLE_1)
	v_cmp_eq_u32_e32 vcc_lo, 0, v3
	s_and_b32 s15, s13, vcc_lo
	s_and_not1_b32 s13, s13, exec_lo
	s_and_b32 s15, s15, exec_lo
	s_or_b32 s13, s13, s15
.LBB4_606:                              ;   in Loop: Header=BB4_495 Depth=2
	s_or_b32 exec_lo, exec_lo, s14
	s_xor_b32 s13, s13, -1
	v_alignbit_b32 v90, v58, v58, 1
	v_cndmask_b32_e64 v3, 0, 1, s13
	s_mov_b32 s13, -1
	s_delay_alu instid0(VALU_DEP_1)
	v_cmp_ne_u32_e32 vcc_lo, 0, v3
	s_cbranch_vccz .LBB4_620
; %bb.607:                              ;   in Loop: Header=BB4_495 Depth=2
	v_alignbit_b32 v8, v58, v58, 1
	s_mov_b32 s75, -1
	s_delay_alu instid0(VALU_DEP_1)
	v_readfirstlane_b32 s14, v8
	s_and_b32 s21, s14, 0x7fffffff
	v_mov_b32_e32 v3, 0
	s_cbranch_execnz .LBB4_621
.LBB4_608:                              ;   in Loop: Header=BB4_495 Depth=2
	v_ashrrev_i32_e32 v3, 31, v43
	v_readfirstlane_b32 s13, v90
	s_mov_b32 s76, exec_lo
	v_lshrrev_b32_e32 v3, 22, v3
	s_and_b32 s21, s13, 0x7fffffff
	s_delay_alu instid0(VALU_DEP_1) | instskip(NEXT) | instid1(VALU_DEP_1)
	v_add_nc_u32_e32 v3, v43, v3
	v_ashrrev_i32_e32 v92, 10, v3
	s_delay_alu instid0(VALU_DEP_1) | instskip(NEXT) | instid1(VALU_DEP_1)
	v_sub_nc_u32_e32 v91, v92, v106
	v_cmpx_lt_i32_e32 0, v91
	s_cbranch_execz .LBB4_612
; %bb.609:                              ;   in Loop: Header=BB4_495 Depth=2
	s_cvt_f32_u32 s13, s21
	s_trap 2
	ds_load_b64 v[8:9], v0
	s_sub_co_i32 s14, 0, s21
	v_rcp_iflag_f32_e32 v3, s13
	v_add_nc_u64_e32 v[58:59], v[56:57], v[80:81]
	v_add_nc_u64_e32 v[62:63], v[46:47], v[80:81]
	s_mov_b32 s77, 0
	s_delay_alu instid0(TRANS32_DEP_1) | instskip(SKIP_1) | instid1(SALU_CYCLE_3)
	v_readfirstlane_b32 s13, v3
	s_mul_f32 s13, s13, 0x4f7ffffe
	s_cvt_u32_f32 s13, s13
	s_wait_dscnt 0x0
	v_add_nc_u64_e32 v[60:61], v[8:9], v[80:81]
	s_delay_alu instid0(SALU_CYCLE_1) | instskip(NEXT) | instid1(SALU_CYCLE_1)
	s_mul_i32 s14, s14, s13
	s_mul_hi_u32 s14, s13, s14
	s_delay_alu instid0(SALU_CYCLE_1) | instskip(NEXT) | instid1(SALU_CYCLE_1)
	s_add_co_i32 s13, s13, s14
	s_mul_hi_u32 s13, s13, -1
	s_delay_alu instid0(SALU_CYCLE_1) | instskip(SKIP_2) | instid1(SALU_CYCLE_1)
	s_mul_i32 s14, s13, s21
	s_add_co_i32 s15, s13, 1
	s_not_b32 s14, s14
	s_sub_co_i32 s16, s14, s21
	s_cmp_ge_u32 s14, s21
	s_cselect_b32 s13, s15, s13
	s_cselect_b32 s14, s16, s14
	s_add_co_i32 s15, s13, 1
	s_cmp_ge_u32 s14, s21
	s_cselect_b32 s24, s15, s13
.LBB4_610:                              ;   Parent Loop BB4_47 Depth=1
                                        ;     Parent Loop BB4_495 Depth=2
                                        ; =>    This Inner Loop Header: Depth=3
	global_load_b128 v[20:23], v[60:61], off th:TH_LOAD_NT
	global_load_b128 v[16:19], v[58:59], off th:TH_LOAD_NT
	global_load_b128 v[12:15], v[60:61], off offset:512 th:TH_LOAD_NT
	global_load_b128 v[8:11], v[58:59], off offset:512 th:TH_LOAD_NT
	v_dual_sub_nc_u32 v91, v91, v52 :: v_dual_mov_b32 v75, v2
	v_dual_mov_b32 v73, v2 :: v_dual_mov_b32 v79, v2
	v_dual_mov_b32 v77, v2 :: v_dual_mov_b32 v121, v2
	;; [unrolled: 1-line block ×3, first 2 shown]
	v_mov_b32_e32 v89, v2
	s_wait_xcnt 0x0
	v_add_nc_u64_e32 v[58:59], v[58:59], v[82:83]
	v_add_nc_u64_e32 v[60:61], v[60:61], v[82:83]
	s_wait_loadcnt 0x2
	v_dual_mov_b32 v3, v21 :: v_dual_add_nc_u32 v20, v20, v16
	s_wait_loadcnt 0x0
	v_dual_add_nc_u32 v21, v22, v18 :: v_dual_add_nc_u32 v12, v12, v8
	v_add_nc_u32_e32 v14, v14, v10
	s_delay_alu instid0(VALU_DEP_3) | instskip(SKIP_1) | instid1(VALU_DEP_4)
	v_add_nc_u64_e32 v[16:17], v[2:3], v[16:17]
	v_dual_mov_b32 v3, v23 :: v_dual_bitop2_b32 v16, v90, v20 bitop3:0x40
	v_dual_sub_nc_u32 v22, 0, v20 :: v_dual_bitop2_b32 v23, v90, v21 bitop3:0x40
	v_dual_sub_nc_u32 v26, 0, v21 :: v_dual_bitop2_b32 v27, v90, v12 bitop3:0x40
	;; [unrolled: 1-line block ×3, first 2 shown]
	s_delay_alu instid0(VALU_DEP_4) | instskip(NEXT) | instid1(VALU_DEP_4)
	v_cmp_lt_i32_e32 vcc_lo, -1, v16
	v_cmp_lt_i32_e64 s13, -1, v23
	v_sub_nc_u32_e32 v88, 0, v14
	v_add_nc_u64_e32 v[18:19], v[2:3], v[18:19]
	v_mov_b32_e32 v3, v13
	v_cmp_lt_i32_e64 s14, -1, v27
	v_cmp_lt_i32_e64 s15, -1, v76
	v_cndmask_b32_e32 v74, v22, v20, vcc_lo
	v_cndmask_b32_e64 v78, v26, v21, s13
	v_dual_sub_nc_u32 v18, 0, v17 :: v_dual_bitop2_b32 v16, v90, v17 bitop3:0x40
	v_cndmask_b32_e64 v94, v72, v12, s14
	v_cndmask_b32_e64 v120, v88, v14, s15
	v_mul_u64_e32 v[12:13], s[24:25], v[74:75]
	v_add_nc_u64_e32 v[8:9], v[2:3], v[8:9]
	v_cmp_lt_i32_e64 s16, -1, v16
	v_mov_b32_e32 v3, v15
	v_mul_u64_e32 v[14:15], s[24:25], v[78:79]
	v_mul_u64_e32 v[22:23], s[24:25], v[120:121]
	v_dual_sub_nc_u32 v12, 0, v19 :: v_dual_bitop2_b32 v8, v90, v19 bitop3:0x40
	v_mul_u64_e32 v[20:21], s[24:25], v[94:95]
	v_cndmask_b32_e64 v72, v18, v17, s16
	v_add_nc_u64_e32 v[10:11], v[2:3], v[10:11]
	s_delay_alu instid0(VALU_DEP_4) | instskip(SKIP_1) | instid1(VALU_DEP_4)
	v_cmp_lt_i32_e64 s17, -1, v8
	v_dual_sub_nc_u32 v8, 0, v9 :: v_dual_bitop2_b32 v3, v90, v9 bitop3:0x40
	v_mul_u64_e32 v[16:17], s[24:25], v[72:73]
	s_delay_alu instid0(VALU_DEP_3) | instskip(NEXT) | instid1(VALU_DEP_3)
	v_cndmask_b32_e64 v76, v12, v19, s17
	v_cmp_lt_i32_e64 s18, -1, v3
	v_dual_sub_nc_u32 v12, 0, v11 :: v_dual_bitop2_b32 v10, v90, v11 bitop3:0x40
	s_delay_alu instid0(VALU_DEP_3) | instskip(NEXT) | instid1(VALU_DEP_3)
	v_mul_u64_e32 v[18:19], s[24:25], v[76:77]
	v_cndmask_b32_e64 v88, v8, v9, s18
	s_delay_alu instid0(VALU_DEP_3) | instskip(NEXT) | instid1(VALU_DEP_2)
	v_cmp_lt_i32_e64 s19, -1, v10
	v_mul_u64_e32 v[8:9], s[24:25], v[88:89]
	v_mul_lo_u32 v3, s21, v13
	v_mul_lo_u32 v8, s21, v15
	s_delay_alu instid0(VALU_DEP_4) | instskip(SKIP_1) | instid1(VALU_DEP_4)
	v_cndmask_b32_e64 v122, v12, v11, s19
	v_mul_lo_u32 v12, s21, v23
	v_sub_nc_u32_e32 v3, v74, v3
	v_mul_lo_u32 v14, s21, v17
	v_sub_nc_u32_e32 v8, v78, v8
	v_mul_u64_e32 v[10:11], s[24:25], v[122:123]
	v_mul_lo_u32 v10, s21, v21
	v_sub_nc_u32_e32 v12, v120, v12
	v_cmp_le_u32_e64 s20, s21, v3
	v_mul_lo_u32 v16, s21, v19
	s_delay_alu instid0(VALU_DEP_2) | instskip(SKIP_3) | instid1(VALU_DEP_3)
	v_add_co_ci_u32_e64 v3, null, 0, v13, s20
	v_cmp_le_u32_e64 s20, s21, v8
	v_mul_lo_u32 v20, s21, v9
	v_sub_nc_u32_e32 v8, v72, v14
	v_add_co_ci_u32_e64 v13, null, 0, v15, s20
	v_sub_nc_u32_e32 v10, v94, v10
	s_delay_alu instid0(VALU_DEP_1) | instskip(SKIP_1) | instid1(VALU_DEP_2)
	v_cmp_le_u32_e64 s20, s21, v10
	v_dual_sub_nc_u32 v10, 0, v3 :: v_dual_sub_nc_u32 v16, v76, v16
	v_add_co_ci_u32_e64 v15, null, 0, v21, s20
	v_cmp_le_u32_e64 s20, s21, v12
	v_sub_nc_u32_e32 v12, 0, v13
	v_mul_lo_u32 v22, s21, v11
	s_delay_alu instid0(VALU_DEP_3) | instskip(SKIP_2) | instid1(VALU_DEP_3)
	v_add_co_ci_u32_e64 v18, null, 0, v23, s20
	v_sub_nc_u32_e32 v14, 0, v15
	v_cmp_le_u32_e64 s20, s21, v8
	v_dual_cndmask_b32 v8, v10, v3 :: v_dual_sub_nc_u32 v21, 0, v18
	s_delay_alu instid0(VALU_DEP_3) | instskip(SKIP_2) | instid1(VALU_DEP_4)
	v_dual_cndmask_b32 v10, v12, v13, s13 :: v_dual_cndmask_b32 v12, v14, v15, s14
	v_sub_nc_u32_e32 v3, v88, v20
	v_cmp_le_u32_e32 vcc_lo, s21, v16
	v_cndmask_b32_e64 v14, v21, v18, s15
	v_add_co_ci_u32_e64 v17, null, 0, v17, s20
	v_sub_nc_u32_e32 v15, v122, v22
	v_add_co_ci_u32_e64 v13, null, 0, v19, vcc_lo
	v_cmp_le_u32_e32 vcc_lo, s21, v3
	v_add_co_ci_u32_e64 v3, null, 0, v9, vcc_lo
	v_sub_nc_u32_e32 v9, 0, v17
	v_cmp_le_u32_e32 vcc_lo, s21, v15
	s_delay_alu instid0(VALU_DEP_2) | instskip(SKIP_3) | instid1(VALU_DEP_2)
	v_dual_sub_nc_u32 v16, 0, v3 :: v_dual_cndmask_b32 v9, v9, v17, s16
	v_add_co_ci_u32_e64 v15, null, 0, v11, vcc_lo
	v_sub_nc_u32_e32 v11, 0, v13
	v_cmp_gt_i32_e32 vcc_lo, 1, v91
	v_dual_sub_nc_u32 v18, 0, v15 :: v_dual_cndmask_b32 v11, v11, v13, s17
	v_cndmask_b32_e64 v13, v16, v3, s18
	s_or_b32 s77, vcc_lo, s77
	s_delay_alu instid0(VALU_DEP_2)
	v_cndmask_b32_e64 v15, v18, v15, s19
	s_clause 0x1
	global_store_b128 v[62:63], v[8:11], off th:TH_STORE_NT
	global_store_b128 v[62:63], v[12:15], off offset:512 th:TH_STORE_NT
	s_wait_xcnt 0x0
	v_add_nc_u64_e32 v[62:63], v[62:63], v[82:83]
	s_and_not1_b32 exec_lo, exec_lo, s77
	s_cbranch_execnz .LBB4_610
; %bb.611:                              ;   in Loop: Header=BB4_495 Depth=2
	s_or_b32 exec_lo, exec_lo, s77
.LBB4_612:                              ;   in Loop: Header=BB4_495 Depth=2
	s_delay_alu instid0(SALU_CYCLE_1) | instskip(SKIP_2) | instid1(VALU_DEP_1)
	s_or_b32 exec_lo, exec_lo, s76
	v_lshlrev_b32_e32 v15, 10, v92
	s_mov_b32 s18, exec_lo
                                        ; implicit-def: $vgpr3
                                        ; implicit-def: $vgpr14
	v_cmpx_ne_u32_e64 v43, v15
	s_cbranch_execz .LBB4_618
; %bb.613:                              ;   in Loop: Header=BB4_495 Depth=2
	v_lshlrev_b32_e32 v3, 5, v91
	v_sub_nc_u32_e32 v9, v43, v15
	s_mov_b32 s19, exec_lo
	s_delay_alu instid0(VALU_DEP_1) | instskip(NEXT) | instid1(VALU_DEP_1)
	v_dual_sub_nc_u32 v3, v105, v3 :: v_dual_ashrrev_i32 v10, 31, v9
	v_dual_ashrrev_i32 v8, 31, v3 :: v_dual_lshrrev_b32 v10, 23, v10
	s_delay_alu instid0(VALU_DEP_1) | instskip(NEXT) | instid1(VALU_DEP_1)
	v_lshrrev_b32_e32 v8, 27, v8
	v_add_nc_u32_e32 v8, v3, v8
	s_delay_alu instid0(VALU_DEP_1) | instskip(NEXT) | instid1(VALU_DEP_4)
	v_and_b32_e32 v11, 0xffffffe0, v8
	v_dual_ashrrev_i32 v8, 5, v8 :: v_dual_add_nc_u32 v10, v9, v10
	s_delay_alu instid0(VALU_DEP_1) | instskip(NEXT) | instid1(VALU_DEP_3)
	v_and_b32_e32 v16, 0xfffffe00, v10
	v_dual_sub_nc_u32 v14, v3, v11 :: v_dual_ashrrev_i32 v10, 9, v10
	s_delay_alu instid0(VALU_DEP_2) | instskip(NEXT) | instid1(VALU_DEP_1)
	v_sub_nc_u32_e32 v17, v9, v16
	v_cmp_lt_i32_e32 vcc_lo, 15, v17
	s_delay_alu instid0(VALU_DEP_3) | instskip(NEXT) | instid1(VALU_DEP_1)
	v_add_co_ci_u32_e64 v10, null, 0, v10, vcc_lo
	v_dual_lshlrev_b32 v3, 4, v14 :: v_dual_sub_nc_u32 v18, v10, v8
	s_delay_alu instid0(VALU_DEP_1) | instskip(NEXT) | instid1(VALU_DEP_1)
	v_lshl_add_u32 v3, v8, 9, v3
	v_sub_nc_u32_e32 v19, v9, v3
	s_delay_alu instid0(VALU_DEP_1)
	v_cmpx_lt_i32_e32 15, v19
	s_cbranch_execz .LBB4_617
; %bb.614:                              ;   in Loop: Header=BB4_495 Depth=2
	s_cvt_f32_u32 s13, s21
	s_trap 2
	ds_load_b64 v[10:11], v0
	s_sub_co_i32 s14, 0, s21
	v_rcp_iflag_f32_e32 v8, s13
	v_add_nc_u32_e32 v12, v3, v15
	s_mov_b32 s20, 0
	s_delay_alu instid0(VALU_DEP_1) | instskip(NEXT) | instid1(TRANS32_DEP_1)
	v_ashrrev_i32_e32 v13, 31, v12
	v_readfirstlane_b32 s13, v8
	s_delay_alu instid0(VALU_DEP_2) | instskip(SKIP_1) | instid1(SALU_CYCLE_3)
	v_add_nc_u64_e32 v[8:9], v[12:13], v[56:57]
	s_mul_f32 s13, s13, 0x4f7ffffe
	s_cvt_u32_f32 s13, s13
	s_wait_dscnt 0x0
	v_add_nc_u64_e32 v[10:11], v[10:11], v[12:13]
	v_add_nc_u64_e32 v[12:13], v[12:13], v[46:47]
	s_mul_i32 s14, s14, s13
	s_delay_alu instid0(SALU_CYCLE_1) | instskip(NEXT) | instid1(SALU_CYCLE_1)
	s_mul_hi_u32 s14, s13, s14
	s_add_co_i32 s13, s13, s14
	s_delay_alu instid0(SALU_CYCLE_1) | instskip(NEXT) | instid1(SALU_CYCLE_1)
	s_mul_hi_u32 s13, s13, -1
	s_mul_i32 s14, s13, s21
	s_add_co_i32 s15, s13, 1
	s_not_b32 s14, s14
	s_delay_alu instid0(SALU_CYCLE_1)
	s_sub_co_i32 s16, s14, s21
	s_cmp_ge_u32 s14, s21
	s_cselect_b32 s13, s15, s13
	s_cselect_b32 s14, s16, s14
	s_add_co_i32 s15, s13, 1
	s_cmp_ge_u32 s14, s21
	s_cselect_b32 s24, s15, s13
.LBB4_615:                              ;   Parent Loop BB4_47 Depth=1
                                        ;     Parent Loop BB4_495 Depth=2
                                        ; =>    This Inner Loop Header: Depth=3
	global_load_b128 v[20:23], v[10:11], off th:TH_LOAD_NT
	global_load_b128 v[58:61], v[8:9], off th:TH_LOAD_NT
	v_dual_mov_b32 v79, v2 :: v_dual_mov_b32 v62, v2
	v_dual_mov_b32 v73, v2 :: v_dual_mov_b32 v75, v2
	v_mov_b32_e32 v77, v2
	s_wait_xcnt 0x0
	v_add_nc_u64_e32 v[8:9], v[8:9], v[68:69]
	v_add_nc_u64_e32 v[10:11], v[10:11], v[68:69]
	v_sub_nc_u32_e32 v19, v19, v68
	s_wait_loadcnt 0x1
	v_dual_mov_b32 v3, v21 :: v_dual_sub_nc_u32 v18, v18, v52
	s_wait_loadcnt 0x0
	v_dual_add_nc_u32 v26, v20, v58 :: v_dual_add_nc_u32 v27, v22, v60
	v_mov_b32_e32 v63, v23
	s_delay_alu instid0(VALU_DEP_3) | instskip(NEXT) | instid1(VALU_DEP_3)
	v_add_nc_u64_e32 v[20:21], v[2:3], v[58:59]
	v_dual_sub_nc_u32 v20, 0, v26 :: v_dual_bitop2_b32 v3, v90, v26 bitop3:0x40
	s_delay_alu instid0(VALU_DEP_4) | instskip(NEXT) | instid1(VALU_DEP_4)
	v_and_b32_e32 v58, v90, v27
	v_add_nc_u64_e32 v[22:23], v[62:63], v[60:61]
	s_delay_alu instid0(VALU_DEP_3) | instskip(SKIP_1) | instid1(VALU_DEP_4)
	v_cmp_lt_i32_e64 s13, -1, v3
	v_sub_nc_u32_e32 v59, 0, v27
	v_cmp_lt_i32_e64 s14, -1, v58
	s_delay_alu instid0(VALU_DEP_3) | instskip(SKIP_1) | instid1(VALU_DEP_3)
	v_dual_cndmask_b32 v72, v20, v26, s13 :: v_dual_bitop2_b32 v3, v90, v21 bitop3:0x40
	v_dual_sub_nc_u32 v20, 0, v21 :: v_dual_bitop2_b32 v22, v90, v23 bitop3:0x40
	v_cndmask_b32_e64 v76, v59, v27, s14
	s_delay_alu instid0(VALU_DEP_3) | instskip(NEXT) | instid1(VALU_DEP_4)
	v_cmp_lt_i32_e64 s15, -1, v3
	v_mul_u64_e32 v[58:59], s[24:25], v[72:73]
	v_sub_nc_u32_e32 v26, 0, v23
	v_cmp_lt_i32_e64 s16, -1, v22
	v_mul_u64_e32 v[60:61], s[24:25], v[76:77]
	s_delay_alu instid0(VALU_DEP_2) | instskip(NEXT) | instid1(VALU_DEP_1)
	v_dual_cndmask_b32 v74, v20, v21, s15 :: v_dual_cndmask_b32 v78, v26, v23, s16
	v_mul_u64_e32 v[20:21], s[24:25], v[74:75]
	s_delay_alu instid0(VALU_DEP_2) | instskip(SKIP_2) | instid1(VALU_DEP_4)
	v_mul_u64_e32 v[22:23], s[24:25], v[78:79]
	v_mul_lo_u32 v3, s21, v59
	v_mul_lo_u32 v20, s21, v61
	;; [unrolled: 1-line block ×3, first 2 shown]
	s_delay_alu instid0(VALU_DEP_3) | instskip(SKIP_1) | instid1(VALU_DEP_4)
	v_sub_nc_u32_e32 v3, v72, v3
	v_mul_lo_u32 v26, s21, v23
	v_sub_nc_u32_e32 v20, v76, v20
	s_delay_alu instid0(VALU_DEP_3) | instskip(NEXT) | instid1(VALU_DEP_1)
	v_cmp_le_u32_e64 s17, s21, v3
	v_add_co_ci_u32_e64 v3, null, 0, v59, s17
	s_delay_alu instid0(VALU_DEP_3) | instskip(SKIP_2) | instid1(VALU_DEP_3)
	v_cmp_le_u32_e64 s17, s21, v20
	v_sub_nc_u32_e32 v20, v74, v22
	v_sub_nc_u32_e32 v22, v78, v26
	v_add_co_ci_u32_e64 v27, null, 0, v61, s17
	s_delay_alu instid0(VALU_DEP_3) | instskip(NEXT) | instid1(VALU_DEP_1)
	v_cmp_le_u32_e64 s17, s21, v20
	v_add_co_ci_u32_e64 v21, null, 0, v21, s17
	s_delay_alu instid0(VALU_DEP_4) | instskip(NEXT) | instid1(VALU_DEP_2)
	v_cmp_le_u32_e64 s17, s21, v22
	v_dual_sub_nc_u32 v20, 0, v3 :: v_dual_sub_nc_u32 v26, 0, v21
	v_sub_nc_u32_e32 v22, 0, v27
	s_delay_alu instid0(VALU_DEP_3) | instskip(NEXT) | instid1(VALU_DEP_3)
	v_add_co_ci_u32_e64 v23, null, 0, v23, s17
	v_dual_cndmask_b32 v20, v20, v3, s13 :: v_dual_cndmask_b32 v21, v26, v21, s15
	s_delay_alu instid0(VALU_DEP_3) | instskip(NEXT) | instid1(VALU_DEP_3)
	v_cndmask_b32_e64 v22, v22, v27, s14
	v_sub_nc_u32_e32 v58, 0, v23
	v_cmp_gt_i32_e64 s13, 16, v19
	s_delay_alu instid0(VALU_DEP_2)
	v_cndmask_b32_e64 v23, v58, v23, s16
	s_or_b32 s20, s13, s20
	global_store_b128 v[12:13], v[20:23], off th:TH_STORE_NT
	s_wait_xcnt 0x0
	v_add_nc_u64_e32 v[12:13], v[12:13], v[68:69]
	s_and_not1_b32 exec_lo, exec_lo, s20
	s_cbranch_execnz .LBB4_615
; %bb.616:                              ;   in Loop: Header=BB4_495 Depth=2
	s_or_b32 exec_lo, exec_lo, s20
.LBB4_617:                              ;   in Loop: Header=BB4_495 Depth=2
	s_delay_alu instid0(SALU_CYCLE_1) | instskip(SKIP_1) | instid1(VALU_DEP_1)
	s_or_b32 exec_lo, exec_lo, s19
	v_cmp_lt_i32_e64 s13, 0, v18
	v_dual_cndmask_b32 v8, 0, v52, s13 :: v_dual_bitop2_b32 v3, 12, v43 bitop3:0x40
	s_delay_alu instid0(VALU_DEP_1) | instskip(SKIP_1) | instid1(VALU_DEP_1)
	v_dual_sub_nc_u32 v9, v17, v3 :: v_dual_cndmask_b32 v43, v17, v3, vcc_lo
	s_and_not1_b32 s13, s75, exec_lo
	v_dual_cndmask_b32 v8, 0, v9 :: v_dual_sub_nc_u32 v3, v8, v18
	s_delay_alu instid0(VALU_DEP_2) | instskip(NEXT) | instid1(VALU_DEP_2)
	v_cmp_ne_u32_e32 vcc_lo, 0, v43
	v_lshl_add_u32 v14, v3, 5, v14
	s_delay_alu instid0(VALU_DEP_3) | instskip(SKIP_1) | instid1(SALU_CYCLE_1)
	v_add3_u32 v3, v16, v15, v8
	s_and_b32 s14, vcc_lo, exec_lo
	s_or_b32 s75, s13, s14
.LBB4_618:                              ;   in Loop: Header=BB4_495 Depth=2
	s_or_b32 exec_lo, exec_lo, s18
	s_and_saveexec_b32 s18, s75
	s_cbranch_execnz .LBB4_622
	s_branch .LBB4_630
.LBB4_619:                              ;   in Loop: Header=BB4_495 Depth=2
	v_cmp_lt_i32_e64 s13, 0, v41
	s_and_saveexec_b32 s14, s2
	s_cbranch_execnz .LBB4_631
	s_branch .LBB4_584
.LBB4_620:                              ;   in Loop: Header=BB4_495 Depth=2
	s_mov_b32 s75, 0
                                        ; implicit-def: $vgpr8
                                        ; implicit-def: $sgpr21
	v_mov_b32_e32 v3, 0
	s_and_not1_b32 vcc_lo, exec_lo, s13
	s_cbranch_vccz .LBB4_608
.LBB4_621:                              ;   in Loop: Header=BB4_495 Depth=2
	v_dual_mov_b32 v14, v0 :: v_dual_mov_b32 v90, v8
	s_and_saveexec_b32 s18, s75
	s_cbranch_execz .LBB4_630
.LBB4_622:                              ;   in Loop: Header=BB4_495 Depth=2
	s_delay_alu instid0(VALU_DEP_1) | instskip(SKIP_1) | instid1(VALU_DEP_1)
	v_dual_ashrrev_i32 v8, 31, v14 :: v_dual_ashrrev_i32 v9, 31, v43
	s_mov_b32 s19, exec_lo
	v_dual_lshrrev_b32 v8, 27, v8 :: v_dual_lshrrev_b32 v9, 23, v9
	s_delay_alu instid0(VALU_DEP_1) | instskip(NEXT) | instid1(VALU_DEP_1)
	v_dual_add_nc_u32 v8, v14, v8 :: v_dual_add_nc_u32 v9, v43, v9
	v_dual_ashrrev_i32 v15, 5, v8 :: v_dual_ashrrev_i32 v17, 9, v9
	s_delay_alu instid0(VALU_DEP_1) | instskip(NEXT) | instid1(VALU_DEP_1)
	v_sub_nc_u32_e32 v16, v17, v15
	v_cmpx_lt_i32_e32 0, v16
	s_cbranch_execz .LBB4_626
; %bb.623:                              ;   in Loop: Header=BB4_495 Depth=2
	s_cvt_f32_u32 s13, s21
	v_and_b32_e32 v8, 0x3fffffe0, v8
	s_trap 2
	ds_load_b64 v[10:11], v0
	v_rcp_iflag_f32_e32 v9, s13
	s_sub_co_i32 s14, 0, s21
	v_sub_nc_u32_e32 v8, v14, v8
	s_mov_b32 s20, 0
	s_delay_alu instid0(TRANS32_DEP_1) | instskip(NEXT) | instid1(VALU_DEP_2)
	v_readfirstlane_b32 s13, v9
	v_dual_lshlrev_b32 v9, 9, v15 :: v_dual_lshlrev_b32 v8, 2, v8
	s_mul_f32 s13, s13, 0x4f7ffffe
	s_delay_alu instid0(VALU_DEP_1) | instskip(NEXT) | instid1(SALU_CYCLE_2)
	v_add3_u32 v12, v8, v3, v9
	s_cvt_u32_f32 s13, s13
	s_delay_alu instid0(VALU_DEP_1) | instskip(NEXT) | instid1(SALU_CYCLE_2)
	v_ashrrev_i32_e32 v13, 31, v12
	s_mul_i32 s14, s14, s13
	s_delay_alu instid0(SALU_CYCLE_1) | instskip(NEXT) | instid1(VALU_DEP_1)
	s_mul_hi_u32 s14, s13, s14
	v_add_nc_u64_e32 v[8:9], v[12:13], v[56:57]
	s_add_co_i32 s13, s13, s14
	s_wait_dscnt 0x0
	v_add_nc_u64_e32 v[10:11], v[10:11], v[12:13]
	s_mul_hi_u32 s13, s13, -1
	v_add_nc_u64_e32 v[12:13], v[12:13], v[46:47]
	s_mul_i32 s14, s13, s21
	s_add_co_i32 s15, s13, 1
	s_not_b32 s14, s14
	s_delay_alu instid0(SALU_CYCLE_1)
	s_sub_co_i32 s16, s14, s21
	s_cmp_ge_u32 s14, s21
	s_cselect_b32 s13, s15, s13
	s_cselect_b32 s14, s16, s14
	s_add_co_i32 s15, s13, 1
	s_cmp_ge_u32 s14, s21
	s_cselect_b32 s24, s15, s13
.LBB4_624:                              ;   Parent Loop BB4_47 Depth=1
                                        ;     Parent Loop BB4_495 Depth=2
                                        ; =>    This Inner Loop Header: Depth=3
	flat_load_b32 v18, v[10:11] th:TH_LOAD_NT
	s_clause 0x3
	flat_load_b32 v20, v[8:9] th:TH_LOAD_NT
	flat_load_b32 v22, v[8:9] offset:128 th:TH_LOAD_NT
	flat_load_b32 v26, v[8:9] offset:256 th:TH_LOAD_NT
	;; [unrolled: 1-line block ×3, first 2 shown]
	s_clause 0x2
	flat_load_b32 v58, v[10:11] offset:128 th:TH_LOAD_NT
	flat_load_b32 v60, v[10:11] offset:256 th:TH_LOAD_NT
	;; [unrolled: 1-line block ×3, first 2 shown]
	v_dual_mov_b32 v19, v2 :: v_dual_mov_b32 v21, v2
	v_dual_mov_b32 v23, v2 :: v_dual_mov_b32 v59, v2
	s_wait_xcnt 0x3
	v_add_nc_u64_e32 v[8:9], v[8:9], v[68:69]
	s_wait_xcnt 0x0
	v_add_nc_u64_e32 v[10:11], v[10:11], v[68:69]
	v_sub_nc_u32_e32 v16, v16, v52
	s_delay_alu instid0(VALU_DEP_1)
	v_cmp_gt_i32_e64 s16, 1, v16
	s_or_b32 s20, s16, s20
	s_wait_loadcnt_dscnt 0x606
	v_add_nc_u32_e32 v18, v18, v20
	s_wait_loadcnt_dscnt 0x202
	v_add_nc_u32_e32 v20, v58, v22
	s_wait_loadcnt_dscnt 0x0
	v_dual_add_nc_u32 v22, v60, v26 :: v_dual_add_nc_u32 v26, v61, v27
	s_delay_alu instid0(VALU_DEP_2) | instskip(SKIP_1) | instid1(VALU_DEP_3)
	v_dual_sub_nc_u32 v61, 0, v20 :: v_dual_bitop2_b32 v27, v18, v90 bitop3:0x40
	v_and_b32_e32 v60, v20, v90
	v_and_b32_e32 v62, v22, v90
	s_delay_alu instid0(VALU_DEP_3) | instskip(NEXT) | instid1(VALU_DEP_3)
	v_cmp_lt_i32_e32 vcc_lo, -1, v27
	v_cmp_lt_i32_e64 s13, -1, v60
	v_sub_nc_u32_e32 v58, 0, v18
	s_delay_alu instid0(VALU_DEP_4) | instskip(NEXT) | instid1(VALU_DEP_2)
	v_cmp_lt_i32_e64 s14, -1, v62
	v_dual_cndmask_b32 v20, v61, v20, s13 :: v_dual_cndmask_b32 v18, v58, v18, vcc_lo
	v_sub_nc_u32_e32 v63, 0, v22
	s_delay_alu instid0(VALU_DEP_2) | instskip(NEXT) | instid1(VALU_DEP_2)
	v_mul_u64_e32 v[60:61], s[24:25], v[18:19]
	v_cndmask_b32_e64 v22, v63, v22, s14
	s_delay_alu instid0(VALU_DEP_4) | instskip(SKIP_1) | instid1(VALU_DEP_4)
	v_mul_u64_e32 v[62:63], s[24:25], v[20:21]
	v_sub_nc_u32_e32 v73, 0, v26
	v_mul_lo_u32 v19, s21, v61
	s_delay_alu instid0(VALU_DEP_3) | instskip(NEXT) | instid1(VALU_DEP_1)
	v_mul_lo_u32 v21, s21, v63
	v_dual_sub_nc_u32 v18, v18, v19 :: v_dual_sub_nc_u32 v19, v20, v21
	s_delay_alu instid0(VALU_DEP_1) | instskip(NEXT) | instid1(VALU_DEP_1)
	v_cmp_le_u32_e64 s17, s21, v18
	v_add_co_ci_u32_e64 v18, null, 0, v61, s17
	s_delay_alu instid0(VALU_DEP_3) | instskip(NEXT) | instid1(VALU_DEP_1)
	v_cmp_le_u32_e64 s17, s21, v19
	v_add_co_ci_u32_e64 v19, null, 0, v63, s17
	v_and_b32_e32 v72, v26, v90
	s_delay_alu instid0(VALU_DEP_1) | instskip(NEXT) | instid1(VALU_DEP_1)
	v_cmp_lt_i32_e64 s15, -1, v72
	v_cndmask_b32_e64 v58, v73, v26, s15
	v_mul_u64_e32 v[72:73], s[24:25], v[22:23]
	s_delay_alu instid0(VALU_DEP_1) | instskip(NEXT) | instid1(VALU_DEP_1)
	v_mul_lo_u32 v23, s21, v73
	v_sub_nc_u32_e32 v20, v22, v23
	v_sub_nc_u32_e32 v23, 0, v19
	s_delay_alu instid0(VALU_DEP_2) | instskip(NEXT) | instid1(VALU_DEP_2)
	v_cmp_le_u32_e64 s17, s21, v20
	v_cndmask_b32_e64 v19, v23, v19, s13
	v_mul_u64_e32 v[74:75], s[24:25], v[58:59]
	s_delay_alu instid0(VALU_DEP_3) | instskip(NEXT) | instid1(VALU_DEP_2)
	v_add_co_ci_u32_e64 v20, null, 0, v73, s17
	v_mul_lo_u32 v26, s21, v75
	s_delay_alu instid0(VALU_DEP_1) | instskip(SKIP_1) | instid1(VALU_DEP_2)
	v_dual_sub_nc_u32 v21, v58, v26 :: v_dual_sub_nc_u32 v26, 0, v20
	v_sub_nc_u32_e32 v22, 0, v18
	v_cmp_le_u32_e64 s17, s21, v21
	s_delay_alu instid0(VALU_DEP_3) | instskip(NEXT) | instid1(VALU_DEP_2)
	v_cndmask_b32_e64 v20, v26, v20, s14
	v_add_co_ci_u32_e64 v21, null, 0, v75, s17
	s_delay_alu instid0(VALU_DEP_1) | instskip(NEXT) | instid1(VALU_DEP_1)
	v_dual_cndmask_b32 v18, v22, v18 :: v_dual_sub_nc_u32 v27, 0, v21
	v_cndmask_b32_e64 v21, v27, v21, s15
	s_clause 0x3
	flat_store_b32 v[12:13], v18 th:TH_STORE_NT
	flat_store_b32 v[12:13], v19 offset:128 th:TH_STORE_NT
	flat_store_b32 v[12:13], v20 offset:256 th:TH_STORE_NT
	;; [unrolled: 1-line block ×3, first 2 shown]
	s_wait_xcnt 0x0
	v_add_nc_u64_e32 v[12:13], v[12:13], v[68:69]
	s_and_not1_b32 exec_lo, exec_lo, s20
	s_cbranch_execnz .LBB4_624
; %bb.625:                              ;   in Loop: Header=BB4_495 Depth=2
	s_or_b32 exec_lo, exec_lo, s20
.LBB4_626:                              ;   in Loop: Header=BB4_495 Depth=2
	s_delay_alu instid0(SALU_CYCLE_1) | instskip(SKIP_1) | instid1(VALU_DEP_1)
	s_or_b32 exec_lo, exec_lo, s19
	v_lshlrev_b32_e32 v8, 9, v17
	v_cmp_ne_u32_e32 vcc_lo, v43, v8
	s_and_b32 exec_lo, exec_lo, vcc_lo
	s_cbranch_execz .LBB4_630
; %bb.627:                              ;   in Loop: Header=BB4_495 Depth=2
	v_dual_lshlrev_b32 v9, 5, v15 :: v_dual_lshlrev_b32 v10, 5, v16
	s_delay_alu instid0(VALU_DEP_1) | instskip(NEXT) | instid1(VALU_DEP_1)
	v_sub_nc_u32_e32 v9, v14, v9
	v_sub_nc_u32_e32 v9, v9, v10
	s_delay_alu instid0(VALU_DEP_1) | instskip(NEXT) | instid1(VALU_DEP_1)
	v_ashrrev_i32_e32 v10, 31, v9
	v_lshrrev_b32_e32 v10, 27, v10
	s_delay_alu instid0(VALU_DEP_1) | instskip(NEXT) | instid1(VALU_DEP_1)
	v_add_nc_u32_e32 v10, v9, v10
	v_and_b32_e32 v11, 0x3fffffe0, v10
	s_delay_alu instid0(VALU_DEP_1) | instskip(NEXT) | instid1(VALU_DEP_1)
	v_dual_lshlrev_b32 v10, 2, v10 :: v_dual_sub_nc_u32 v9, v9, v11
	v_and_b32_e32 v10, 0xffffff80, v10
	s_delay_alu instid0(VALU_DEP_2) | instskip(NEXT) | instid1(VALU_DEP_1)
	v_lshlrev_b32_e32 v9, 2, v9
	v_add3_u32 v8, v10, v9, v8
	s_delay_alu instid0(VALU_DEP_1) | instskip(NEXT) | instid1(VALU_DEP_1)
	v_sub_nc_u32_e32 v14, v43, v8
	v_cmp_lt_i32_e32 vcc_lo, 3, v14
	s_and_b32 exec_lo, exec_lo, vcc_lo
	s_cbranch_execz .LBB4_630
; %bb.628:                              ;   in Loop: Header=BB4_495 Depth=2
	s_cvt_f32_u32 s13, s21
	s_trap 2
	ds_load_b64 v[10:11], v0
	s_sub_co_i32 s14, 0, s21
	v_rcp_iflag_f32_e32 v9, s13
	v_add_nc_u32_e32 v12, v8, v3
	s_delay_alu instid0(VALU_DEP_1) | instskip(NEXT) | instid1(TRANS32_DEP_1)
	v_ashrrev_i32_e32 v13, 31, v12
	v_readfirstlane_b32 s13, v9
	s_delay_alu instid0(VALU_DEP_2) | instskip(SKIP_1) | instid1(SALU_CYCLE_3)
	v_add_nc_u64_e32 v[8:9], v[12:13], v[56:57]
	s_mul_f32 s13, s13, 0x4f7ffffe
	s_cvt_u32_f32 s13, s13
	s_wait_dscnt 0x0
	v_add_nc_u64_e32 v[10:11], v[10:11], v[12:13]
	v_add_nc_u64_e32 v[12:13], v[12:13], v[46:47]
	s_mul_i32 s14, s14, s13
	s_delay_alu instid0(SALU_CYCLE_1) | instskip(NEXT) | instid1(SALU_CYCLE_1)
	s_mul_hi_u32 s14, s13, s14
	s_add_co_i32 s13, s13, s14
	s_delay_alu instid0(SALU_CYCLE_1) | instskip(NEXT) | instid1(SALU_CYCLE_1)
	s_mul_hi_u32 s13, s13, -1
	s_mul_i32 s14, s13, s21
	s_add_co_i32 s15, s13, 1
	s_not_b32 s14, s14
	s_delay_alu instid0(SALU_CYCLE_1)
	s_sub_co_i32 s16, s14, s21
	s_cmp_ge_u32 s14, s21
	s_cselect_b32 s13, s15, s13
	s_cselect_b32 s14, s16, s14
	s_add_co_i32 s15, s13, 1
	s_cmp_ge_u32 s14, s21
	s_mov_b32 s14, 0
	s_cselect_b32 s24, s15, s13
.LBB4_629:                              ;   Parent Loop BB4_47 Depth=1
                                        ;     Parent Loop BB4_495 Depth=2
                                        ; =>    This Inner Loop Header: Depth=3
	flat_load_b32 v3, v[8:9] th:TH_LOAD_NT
	flat_load_b32 v15, v[10:11] th:TH_LOAD_NT
	v_mov_b32_e32 v17, v2
	s_wait_xcnt 0x1
	v_add_nc_u64_e32 v[8:9], v[8:9], v[70:71]
	s_wait_xcnt 0x0
	v_add_nc_u64_e32 v[10:11], v[10:11], v[70:71]
	s_wait_loadcnt_dscnt 0x0
	v_dual_sub_nc_u32 v14, v14, v70 :: v_dual_add_nc_u32 v3, v15, v3
	s_delay_alu instid0(VALU_DEP_1) | instskip(NEXT) | instid1(VALU_DEP_1)
	v_dual_sub_nc_u32 v16, 0, v3 :: v_dual_bitop2_b32 v15, v3, v90 bitop3:0x40
	v_cmp_lt_i32_e32 vcc_lo, -1, v15
	s_delay_alu instid0(VALU_DEP_2) | instskip(NEXT) | instid1(VALU_DEP_1)
	v_cndmask_b32_e32 v16, v16, v3, vcc_lo
	v_mul_u64_e32 v[18:19], s[24:25], v[16:17]
	s_delay_alu instid0(VALU_DEP_1) | instskip(NEXT) | instid1(VALU_DEP_1)
	v_mul_lo_u32 v3, s21, v19
	v_sub_nc_u32_e32 v3, v16, v3
	s_delay_alu instid0(VALU_DEP_1) | instskip(NEXT) | instid1(VALU_DEP_1)
	v_cmp_le_u32_e64 s13, s21, v3
	v_add_co_ci_u32_e64 v3, null, 0, v19, s13
	s_delay_alu instid0(VALU_DEP_1) | instskip(NEXT) | instid1(VALU_DEP_1)
	v_sub_nc_u32_e32 v15, 0, v3
	v_cndmask_b32_e32 v3, v15, v3, vcc_lo
	v_cmp_gt_i32_e32 vcc_lo, 4, v14
	flat_store_b32 v[12:13], v3 th:TH_STORE_NT
	s_wait_xcnt 0x0
	v_add_nc_u64_e32 v[12:13], v[12:13], v[70:71]
	s_or_b32 s14, vcc_lo, s14
	s_delay_alu instid0(SALU_CYCLE_1)
	s_and_not1_b32 exec_lo, exec_lo, s14
	s_cbranch_execnz .LBB4_629
.LBB4_630:                              ;   in Loop: Header=BB4_495 Depth=2
	s_or_b32 exec_lo, exec_lo, s18
	v_cmp_lt_i32_e64 s13, 0, v41
	s_and_saveexec_b32 s14, s2
	s_cbranch_execz .LBB4_584
.LBB4_631:                              ;   in Loop: Header=BB4_495 Depth=2
	s_and_saveexec_b32 s15, s3
	s_delay_alu instid0(SALU_CYCLE_1)
	s_xor_b32 s15, exec_lo, s15
	s_cbranch_execz .LBB4_646
; %bb.632:                              ;   in Loop: Header=BB4_495 Depth=2
	s_and_saveexec_b32 s16, s6
	s_cbranch_execz .LBB4_645
; %bb.633:                              ;   in Loop: Header=BB4_495 Depth=2
	s_mov_b32 s18, exec_lo
	s_mov_b32 s17, exec_lo
	v_mbcnt_lo_u32_b32 v3, s18, 0
	global_wb scope:SCOPE_DEV
	s_wait_storecnt 0x0
	s_wait_loadcnt_dscnt 0x0
	global_inv scope:SCOPE_DEV
	v_cmpx_eq_u32_e32 0, v3
	s_cbranch_execz .LBB4_635
; %bb.634:                              ;   in Loop: Header=BB4_495 Depth=2
	s_bcnt1_i32_b32 s18, s18
	s_delay_alu instid0(SALU_CYCLE_1)
	v_dual_mov_b32 v9, v2 :: v_dual_mov_b32 v8, s18
	s_wait_loadcnt 0x0
	ds_add_u64 v0, v[8:9]
	s_trap 2
.LBB4_635:                              ;   in Loop: Header=BB4_495 Depth=2
	s_or_b32 exec_lo, exec_lo, s17
	s_trap 2
	ds_load_b64 v[8:9], v0
	s_wait_dscnt 0x0
	v_add_nc_u64_e32 v[48:49], v[48:49], v[52:53]
	s_mov_b32 s17, exec_lo
	s_delay_alu instid0(VALU_DEP_1)
	v_cmpx_lt_u64_e64 v[8:9], v[48:49]
	s_cbranch_execz .LBB4_644
; %bb.636:                              ;   in Loop: Header=BB4_495 Depth=2
	s_mov_b32 s18, 0
	s_mov_b32 s21, 0
                                        ; implicit-def: $sgpr19
                                        ; implicit-def: $sgpr20
	s_branch .LBB4_638
.LBB4_637:                              ;   in Loop: Header=BB4_638 Depth=3
	s_or_b32 exec_lo, exec_lo, s75
	s_delay_alu instid0(SALU_CYCLE_1) | instskip(NEXT) | instid1(SALU_CYCLE_1)
	s_and_b32 s24, exec_lo, s76
	s_or_b32 s18, s24, s18
	s_and_not1_b32 s19, s19, exec_lo
	s_and_b32 s24, s20, exec_lo
	s_delay_alu instid0(SALU_CYCLE_1)
	s_or_b32 s19, s19, s24
	s_and_not1_b32 exec_lo, exec_lo, s18
	s_cbranch_execz .LBB4_642
.LBB4_638:                              ;   Parent Loop BB4_47 Depth=1
                                        ;     Parent Loop BB4_495 Depth=2
                                        ; =>    This Inner Loop Header: Depth=3
	s_add_co_i32 s21, s21, 1
	s_delay_alu instid0(SALU_CYCLE_1) | instskip(SKIP_1) | instid1(SALU_CYCLE_1)
	s_cmp_lg_u32 s21, 0x2710
	s_cselect_b32 s24, -1, 0
	s_and_b32 vcc_lo, exec_lo, s24
	s_cbranch_vccz .LBB4_640
; %bb.639:                              ;   in Loop: Header=BB4_638 Depth=3
	s_mov_b32 s76, -1
	s_or_b32 s20, s20, exec_lo
	s_and_saveexec_b32 s75, s24
	s_cbranch_execz .LBB4_637
	s_branch .LBB4_641
.LBB4_640:                              ;   in Loop: Header=BB4_638 Depth=3
	s_trap 2
	ds_load_b64 v[8:9], v0
	s_and_not1_b32 s24, s24, exec_lo
	s_mov_b32 s21, 0
	s_wait_loadcnt_dscnt 0x0
	flat_load_b32 v3, v[8:9] scope:SCOPE_SYS
	s_wait_loadcnt_dscnt 0x0
	global_inv scope:SCOPE_SYS
	v_cmp_eq_u32_e32 vcc_lo, 0, v3
	s_and_b32 s75, vcc_lo, exec_lo
	s_delay_alu instid0(SALU_CYCLE_1)
	s_or_b32 s24, s24, s75
	s_mov_b32 s76, -1
	s_or_b32 s20, s20, exec_lo
	s_and_saveexec_b32 s75, s24
	s_cbranch_execz .LBB4_637
.LBB4_641:                              ;   in Loop: Header=BB4_638 Depth=3
	s_sleep 1
	s_trap 2
	ds_load_b64 v[8:9], v0
	s_wait_dscnt 0x0
	s_and_not1_b32 s20, s20, exec_lo
	v_cmp_ge_u64_e32 vcc_lo, v[8:9], v[48:49]
	s_or_not1_b32 s76, vcc_lo, exec_lo
	s_branch .LBB4_637
.LBB4_642:                              ;   in Loop: Header=BB4_495 Depth=2
	s_or_b32 exec_lo, exec_lo, s18
	s_and_saveexec_b32 s18, s19
	s_delay_alu instid0(SALU_CYCLE_1)
	s_xor_b32 s18, exec_lo, s18
	s_cbranch_execz .LBB4_644
; %bb.643:                              ;   in Loop: Header=BB4_495 Depth=2
	ds_store_b32 v0, v107
	s_trap 2
.LBB4_644:                              ;   in Loop: Header=BB4_495 Depth=2
	s_or_b32 exec_lo, exec_lo, s17
	;;#ASMSTART
	s_wakeup
	;;#ASMEND
.LBB4_645:                              ;   in Loop: Header=BB4_495 Depth=2
	s_or_b32 exec_lo, exec_lo, s16
.LBB4_646:                              ;   in Loop: Header=BB4_495 Depth=2
	s_and_not1_saveexec_b32 s15, s15
	s_cbranch_execz .LBB4_648
; %bb.647:                              ;   in Loop: Header=BB4_495 Depth=2
	global_wb scope:SCOPE_DEV
	s_wait_storecnt 0x0
	s_wait_loadcnt_dscnt 0x0
	global_inv scope:SCOPE_DEV
	s_barrier_signal -1
	s_barrier_wait -1
.LBB4_648:                              ;   in Loop: Header=BB4_495 Depth=2
	s_or_b32 exec_lo, exec_lo, s15
	s_delay_alu instid0(SALU_CYCLE_1) | instskip(SKIP_1) | instid1(SALU_CYCLE_1)
	s_or_b32 exec_lo, exec_lo, s14
                                        ; implicit-def: $vgpr3
	s_and_saveexec_b32 s14, s12
	s_xor_b32 s14, exec_lo, s14
	s_cbranch_execnz .LBB4_585
.LBB4_649:                              ;   in Loop: Header=BB4_495 Depth=2
	s_and_not1_saveexec_b32 s13, s14
	s_cbranch_execz .LBB4_668
.LBB4_650:                              ;   in Loop: Header=BB4_495 Depth=2
	s_and_saveexec_b32 s14, s3
	s_delay_alu instid0(SALU_CYCLE_1)
	s_xor_b32 s14, exec_lo, s14
	s_cbranch_execz .LBB4_665
; %bb.651:                              ;   in Loop: Header=BB4_495 Depth=2
	s_and_saveexec_b32 s15, s6
	s_cbranch_execz .LBB4_664
; %bb.652:                              ;   in Loop: Header=BB4_495 Depth=2
	s_mov_b32 s17, exec_lo
	s_mov_b32 s16, exec_lo
	v_mbcnt_lo_u32_b32 v3, s17, 0
	;;#ASMSTART
	s_waitcnt lgkmcnt(0) vmcnt(0)
	;;#ASMEND
	s_delay_alu instid0(VALU_DEP_1)
	v_cmpx_eq_u32_e32 0, v3
	s_cbranch_execz .LBB4_654
; %bb.653:                              ;   in Loop: Header=BB4_495 Depth=2
	s_bcnt1_i32_b32 s17, s17
	s_delay_alu instid0(SALU_CYCLE_1)
	v_dual_mov_b32 v9, v2 :: v_dual_mov_b32 v8, s17
	s_wait_storecnt 0x0
	s_wait_loadcnt_dscnt 0x0
	ds_add_u64 v0, v[8:9]
	s_trap 2
.LBB4_654:                              ;   in Loop: Header=BB4_495 Depth=2
	s_or_b32 exec_lo, exec_lo, s16
	s_trap 2
	ds_load_b64 v[8:9], v0
	s_wait_dscnt 0x0
	v_add_nc_u64_e32 v[48:49], v[48:49], v[52:53]
	s_mov_b32 s16, exec_lo
	s_delay_alu instid0(VALU_DEP_1)
	v_cmpx_lt_u64_e64 v[8:9], v[48:49]
	s_cbranch_execz .LBB4_663
; %bb.655:                              ;   in Loop: Header=BB4_495 Depth=2
	s_mov_b32 s17, 0
	s_mov_b32 s20, 0
                                        ; implicit-def: $sgpr18
                                        ; implicit-def: $sgpr19
	s_branch .LBB4_657
.LBB4_656:                              ;   in Loop: Header=BB4_657 Depth=3
	s_or_b32 exec_lo, exec_lo, s24
	s_delay_alu instid0(SALU_CYCLE_1) | instskip(NEXT) | instid1(SALU_CYCLE_1)
	s_and_b32 s21, exec_lo, s75
	s_or_b32 s17, s21, s17
	s_and_not1_b32 s18, s18, exec_lo
	s_and_b32 s21, s19, exec_lo
	s_delay_alu instid0(SALU_CYCLE_1)
	s_or_b32 s18, s18, s21
	s_and_not1_b32 exec_lo, exec_lo, s17
	s_cbranch_execz .LBB4_661
.LBB4_657:                              ;   Parent Loop BB4_47 Depth=1
                                        ;     Parent Loop BB4_495 Depth=2
                                        ; =>    This Inner Loop Header: Depth=3
	s_add_co_i32 s20, s20, 1
	s_delay_alu instid0(SALU_CYCLE_1) | instskip(SKIP_1) | instid1(SALU_CYCLE_1)
	s_cmp_lg_u32 s20, 0x2710
	s_cselect_b32 s21, -1, 0
	s_and_b32 vcc_lo, exec_lo, s21
	s_cbranch_vccz .LBB4_659
; %bb.658:                              ;   in Loop: Header=BB4_657 Depth=3
	s_mov_b32 s75, -1
	s_or_b32 s19, s19, exec_lo
	s_and_saveexec_b32 s24, s21
	s_cbranch_execz .LBB4_656
	s_branch .LBB4_660
.LBB4_659:                              ;   in Loop: Header=BB4_657 Depth=3
	s_trap 2
	ds_load_b64 v[8:9], v0
	s_and_not1_b32 s21, s21, exec_lo
	s_mov_b32 s20, 0
	s_wait_storecnt 0x0
	s_wait_loadcnt_dscnt 0x0
	flat_load_b32 v3, v[8:9] scope:SCOPE_SYS
	s_wait_loadcnt_dscnt 0x0
	global_inv scope:SCOPE_SYS
	v_cmp_eq_u32_e32 vcc_lo, 0, v3
	s_and_b32 s24, vcc_lo, exec_lo
	s_delay_alu instid0(SALU_CYCLE_1)
	s_or_b32 s21, s21, s24
	s_mov_b32 s75, -1
	s_or_b32 s19, s19, exec_lo
	s_and_saveexec_b32 s24, s21
	s_cbranch_execz .LBB4_656
.LBB4_660:                              ;   in Loop: Header=BB4_657 Depth=3
	s_sleep 1
	s_trap 2
	ds_load_b64 v[8:9], v0
	s_wait_dscnt 0x0
	s_and_not1_b32 s19, s19, exec_lo
	v_cmp_ge_u64_e32 vcc_lo, v[8:9], v[48:49]
	s_or_not1_b32 s75, vcc_lo, exec_lo
	s_branch .LBB4_656
.LBB4_661:                              ;   in Loop: Header=BB4_495 Depth=2
	s_or_b32 exec_lo, exec_lo, s17
	s_and_saveexec_b32 s17, s18
	s_delay_alu instid0(SALU_CYCLE_1)
	s_xor_b32 s17, exec_lo, s17
	s_cbranch_execz .LBB4_663
; %bb.662:                              ;   in Loop: Header=BB4_495 Depth=2
	ds_store_b32 v0, v107
	s_trap 2
.LBB4_663:                              ;   in Loop: Header=BB4_495 Depth=2
	s_or_b32 exec_lo, exec_lo, s16
	;;#ASMSTART
	s_wakeup
	;;#ASMEND
.LBB4_664:                              ;   in Loop: Header=BB4_495 Depth=2
	s_or_b32 exec_lo, exec_lo, s15
.LBB4_665:                              ;   in Loop: Header=BB4_495 Depth=2
	s_and_not1_saveexec_b32 s14, s14
	s_cbranch_execz .LBB4_667
; %bb.666:                              ;   in Loop: Header=BB4_495 Depth=2
	;;#ASMSTART
	s_waitcnt lgkmcnt(0) vmcnt(0)
	;;#ASMEND
	s_barrier_signal -1
	s_barrier_wait -1
.LBB4_667:                              ;   in Loop: Header=BB4_495 Depth=2
	s_or_b32 exec_lo, exec_lo, s14
	v_and_b32_e32 v3, 16, v30
.LBB4_668:                              ;   in Loop: Header=BB4_495 Depth=2
	s_or_b32 exec_lo, exec_lo, s13
	s_delay_alu instid0(VALU_DEP_1) | instskip(SKIP_1) | instid1(SALU_CYCLE_1)
	v_cmp_ne_u32_e32 vcc_lo, 0, v3
	s_xor_b32 s13, s4, -1
	s_and_b32 s14, vcc_lo, s13
	s_delay_alu instid0(SALU_CYCLE_1)
	s_and_saveexec_b32 s13, s14
	s_cbranch_execz .LBB4_670
; %bb.669:                              ;   in Loop: Header=BB4_495 Depth=2
	global_wb scope:SCOPE_SYS
	s_wait_storecnt 0x0
	s_wait_loadcnt_dscnt 0x0
	flat_store_b32 v[38:39], v107 scope:SCOPE_SYS
.LBB4_670:                              ;   in Loop: Header=BB4_495 Depth=2
	s_wait_xcnt 0x0
	s_or_b32 exec_lo, exec_lo, s13
	v_and_b32_e32 v3, 48, v30
	s_mov_b32 s13, exec_lo
	s_delay_alu instid0(VALU_DEP_1)
	v_cmpx_ne_u32_e32 0, v3
	s_cbranch_execz .LBB4_494
; %bb.671:                              ;   in Loop: Header=BB4_495 Depth=2
	v_add_nc_u64_e32 v[114:115], 2, v[114:115]
	global_wb scope:SCOPE_SYS
	s_wait_storecnt 0x0
	s_wait_loadcnt_dscnt 0x0
	flat_store_b64 v[32:33], v[114:115] scope:SCOPE_SYS
	s_branch .LBB4_494
.LBB4_672:                              ;   in Loop: Header=BB4_47 Depth=1
	s_or_b32 exec_lo, exec_lo, s72
.LBB4_673:                              ;   in Loop: Header=BB4_47 Depth=1
	s_delay_alu instid0(SALU_CYCLE_1) | instskip(NEXT) | instid1(SALU_CYCLE_1)
	s_or_b32 exec_lo, exec_lo, s43
	s_mov_b32 s14, exec_lo
	v_cmpx_gt_i32_e32 2, v3
	s_cbranch_execz .LBB4_749
; %bb.674:                              ;   in Loop: Header=BB4_47 Depth=1
	v_cmp_eq_u32_e64 s16, 0, v3
	s_mov_b32 s15, 0
	s_branch .LBB4_676
.LBB4_675:                              ;   in Loop: Header=BB4_676 Depth=2
	s_wait_xcnt 0x0
	s_or_b32 exec_lo, exec_lo, s13
	v_add_nc_u32_e32 v42, v40, v42
	s_mov_b32 s16, 0
	s_and_not1_b32 exec_lo, exec_lo, s15
	s_cbranch_execz .LBB4_748
.LBB4_676:                              ;   Parent Loop BB4_47 Depth=1
                                        ; =>  This Loop Header: Depth=2
                                        ;       Child Loop BB4_682 Depth 3
                                        ;       Child Loop BB4_710 Depth 3
	;; [unrolled: 1-line block ×3, first 2 shown]
	s_delay_alu instid0(VALU_DEP_1) | instskip(SKIP_2) | instid1(VALU_DEP_2)
	v_sub_nc_u32_e32 v3, v110, v42
	v_and_b32_e32 v8, 12, v30
	s_mov_b32 s17, exec_lo
	v_min_i32_e32 v40, v40, v3
	s_delay_alu instid0(VALU_DEP_2)
	v_cmpx_ne_u32_e32 0, v8
	s_cbranch_execz .LBB4_702
; %bb.677:                              ;   in Loop: Header=BB4_676 Depth=2
	v_dual_mov_b32 v11, v2 :: v_dual_bitop2_b32 v10, 8, v30 bitop3:0x40
	v_add_nc_u64_e32 v[8:9], 2, v[114:115]
	s_mov_b32 s18, exec_lo
	s_wait_loadcnt_dscnt 0x1
	s_delay_alu instid0(VALU_DEP_2) | instskip(NEXT) | instid1(VALU_DEP_1)
	v_add_nc_u64_e32 v[12:13], v[50:51], v[10:11]
	v_cmpx_lt_u64_e64 v[12:13], v[8:9]
	s_cbranch_execz .LBB4_689
; %bb.678:                              ;   in Loop: Header=BB4_676 Depth=2
	v_and_b32_e32 v3, 64, v30
	s_mov_b32 s19, 0
	s_mov_b32 s43, 0
                                        ; implicit-def: $sgpr20
                                        ; implicit-def: $sgpr21
                                        ; implicit-def: $sgpr24
	s_delay_alu instid0(VALU_DEP_1)
	v_cmp_eq_u32_e32 vcc_lo, 0, v3
	s_branch .LBB4_682
.LBB4_679:                              ;   in Loop: Header=BB4_682 Depth=3
	s_wait_loadcnt_dscnt 0x0
	v_add_nc_u64_e32 v[12:13], v[50:51], v[10:11]
	s_or_b32 s74, s74, exec_lo
	s_delay_alu instid0(VALU_DEP_1)
	v_cmp_ge_u64_e64 s13, v[12:13], v[8:9]
	s_or_not1_b32 s73, s13, exec_lo
.LBB4_680:                              ;   in Loop: Header=BB4_682 Depth=3
	s_or_b32 exec_lo, exec_lo, s76
	s_delay_alu instid0(SALU_CYCLE_1)
	s_and_not1_b32 s13, s24, exec_lo
	s_and_b32 s24, s74, exec_lo
	s_and_not1_b32 s21, s21, exec_lo
	s_and_b32 s73, s73, exec_lo
	s_or_b32 s24, s13, s24
	s_or_b32 s21, s21, s73
.LBB4_681:                              ;   in Loop: Header=BB4_682 Depth=3
	s_or_b32 exec_lo, exec_lo, s72
	s_delay_alu instid0(SALU_CYCLE_1) | instskip(NEXT) | instid1(SALU_CYCLE_1)
	s_and_b32 s13, exec_lo, s21
	s_or_b32 s19, s13, s19
	s_and_not1_b32 s13, s20, exec_lo
	s_and_b32 s20, s24, exec_lo
	s_delay_alu instid0(SALU_CYCLE_1)
	s_or_b32 s20, s13, s20
	s_and_not1_b32 exec_lo, exec_lo, s19
	s_cbranch_execz .LBB4_686
.LBB4_682:                              ;   Parent Loop BB4_47 Depth=1
                                        ;     Parent Loop BB4_676 Depth=2
                                        ; =>    This Inner Loop Header: Depth=3
	s_sleep 1
	s_wait_loadcnt_dscnt 0x0
	flat_load_b64 v[50:51], v[32:33] scope:SCOPE_SYS
	s_or_b32 s24, s24, exec_lo
	s_or_b32 s21, s21, exec_lo
                                        ; implicit-def: $vgpr3
	s_wait_xcnt 0x0
	s_and_saveexec_b32 s72, vcc_lo
	s_cbranch_execz .LBB4_681
; %bb.683:                              ;   in Loop: Header=BB4_682 Depth=3
	s_cmp_lt_i32 s43, 0x270f
	s_mov_b32 s73, -1
	s_cselect_b32 s75, -1, 0
	s_cmp_gt_i32 s43, 0x270e
	s_cbranch_scc0 .LBB4_685
; %bb.684:                              ;   in Loop: Header=BB4_682 Depth=3
	s_trap 2
	ds_load_b64 v[12:13], v0
	s_and_not1_b32 s43, s75, exec_lo
	s_mov_b32 s74, 0
	s_wait_storecnt 0x0
	s_wait_loadcnt_dscnt 0x0
	flat_load_b32 v3, v[12:13] scope:SCOPE_SYS
	s_wait_loadcnt_dscnt 0x0
	global_inv scope:SCOPE_SYS
	v_cmp_eq_u32_e64 s13, 0, v3
	s_and_b32 s13, s13, exec_lo
	s_delay_alu instid0(SALU_CYCLE_1)
	s_or_b32 s75, s43, s13
	s_mov_b32 s43, 0
	s_and_saveexec_b32 s76, s75
	s_cbranch_execz .LBB4_680
	s_branch .LBB4_679
.LBB4_685:                              ;   in Loop: Header=BB4_682 Depth=3
	s_add_co_i32 s43, s43, 1
	s_mov_b32 s74, -1
                                        ; implicit-def: $vgpr3
	s_and_saveexec_b32 s76, s75
	s_cbranch_execz .LBB4_680
	s_branch .LBB4_679
.LBB4_686:                              ;   in Loop: Header=BB4_676 Depth=2
	s_or_b32 exec_lo, exec_lo, s19
	s_xor_b32 s13, s20, -1
	s_delay_alu instid0(SALU_CYCLE_1) | instskip(NEXT) | instid1(SALU_CYCLE_1)
	s_and_saveexec_b32 s19, s13
	s_xor_b32 s13, exec_lo, s19
	s_cbranch_execz .LBB4_688
; %bb.687:                              ;   in Loop: Header=BB4_676 Depth=2
	v_or_b32_e32 v30, 64, v30
	s_wait_storecnt 0x0
	s_wait_loadcnt_dscnt 0x0
	ds_store_b32 v0, v3
	s_trap 2
.LBB4_688:                              ;   in Loop: Header=BB4_676 Depth=2
	s_or_b32 exec_lo, exec_lo, s13
.LBB4_689:                              ;   in Loop: Header=BB4_676 Depth=2
	s_delay_alu instid0(SALU_CYCLE_1) | instskip(SKIP_3) | instid1(VALU_DEP_1)
	s_or_b32 exec_lo, exec_lo, s18
	v_and_b32_e32 v3, 0x108, v30
	s_mov_b32 s13, exec_lo
	;;#ASMSTART
	s_wakeup
	;;#ASMEND
                                        ; implicit-def: $vgpr12_vgpr13
	v_cmpx_ne_u32_e32 0x108, v3
	s_xor_b32 s13, exec_lo, s13
; %bb.690:                              ;   in Loop: Header=BB4_676 Depth=2
	v_dual_mov_b32 v13, v2 :: v_dual_bitop2_b32 v12, 7, v114 bitop3:0x40
                                        ; implicit-def: $vgpr114_vgpr115
; %bb.691:                              ;   in Loop: Header=BB4_676 Depth=2
	s_and_not1_saveexec_b32 s13, s13
	s_cbranch_execz .LBB4_693
; %bb.692:                              ;   in Loop: Header=BB4_676 Depth=2
	v_dual_ashrrev_i32 v41, 31, v40 :: v_dual_bitop2_b32 v12, 7, v114 bitop3:0x40
	v_mov_b32_e32 v13, v2
	s_delay_alu instid0(VALU_DEP_2) | instskip(NEXT) | instid1(VALU_DEP_3)
	v_mad_nc_u64_u32 v[14:15], v12, 24, v[6:7]
	v_lshlrev_b64_e32 v[16:17], 2, v[40:41]
	flat_store_b64 v[14:15], v[16:17] offset:8
.LBB4_693:                              ;   in Loop: Header=BB4_676 Depth=2
	s_wait_xcnt 0x0
	s_or_b32 exec_lo, exec_lo, s13
	v_and_b32_e32 v3, 0x100, v30
	s_mov_b32 s13, -1
	s_mov_b32 s18, exec_lo
                                        ; implicit-def: $vgpr14_vgpr15
	s_delay_alu instid0(VALU_DEP_1)
	v_cmpx_ne_u32_e32 0, v3
	s_cbranch_execz .LBB4_697
; %bb.694:                              ;   in Loop: Header=BB4_676 Depth=2
	v_mad_nc_u64_u32 v[16:17], v12, 24, v[6:7]
	s_mov_b32 s19, exec_lo
                                        ; implicit-def: $vgpr14_vgpr15
	s_delay_alu instid0(VALU_DEP_1)
	v_mad_u32 v17, v13, 24, v17
	flat_load_b32 v3, v[16:17]
	s_wait_loadcnt_dscnt 0x0
	v_cmp_ne_u32_e32 vcc_lo, 1, v3
	s_wait_xcnt 0x0
	v_cmpx_eq_u32_e32 1, v3
	s_cbranch_execz .LBB4_696
; %bb.695:                              ;   in Loop: Header=BB4_676 Depth=2
	flat_load_b32 v14, v[16:17] offset:4 scope:SCOPE_SYS
	s_wait_loadcnt_dscnt 0x0
	v_ashrrev_i32_e32 v15, 31, v14
	s_delay_alu instid0(VALU_DEP_1)
	v_lshrrev_b64 v[14:15], 2, v[14:15]
.LBB4_696:                              ;   in Loop: Header=BB4_676 Depth=2
	s_wait_xcnt 0x0
	s_or_b32 exec_lo, exec_lo, s19
	s_delay_alu instid0(SALU_CYCLE_1)
	s_or_not1_b32 s13, vcc_lo, exec_lo
.LBB4_697:                              ;   in Loop: Header=BB4_676 Depth=2
	s_or_b32 exec_lo, exec_lo, s18
	s_and_saveexec_b32 s18, s13
; %bb.698:                              ;   in Loop: Header=BB4_676 Depth=2
	v_mul_u64_e32 v[14:15], v[12:13], v[34:35]
; %bb.699:                              ;   in Loop: Header=BB4_676 Depth=2
	s_or_b32 exec_lo, exec_lo, s18
	v_cmp_eq_u32_e32 vcc_lo, 0, v10
	v_and_b32_e32 v12, 0x2000, v30
	s_delay_alu instid0(VALU_DEP_3) | instskip(SKIP_2) | instid1(VALU_DEP_1)
	v_lshl_add_u64 v[10:11], v[14:15], 2, v[36:37]
	s_mov_b32 s13, exec_lo
	v_cndmask_b32_e32 v3, 0xd0, v108, vcc_lo
	v_add_nc_u32_e32 v3, v0, v3
	ds_store_b64 v3, v[10:11] offset:584
	v_cmpx_ne_u32_e32 0, v12
	s_cbranch_execz .LBB4_701
; %bb.700:                              ;   in Loop: Header=BB4_676 Depth=2
	ds_load_b64 v[10:11], v0 offset:872
	s_wait_dscnt 0x0
	v_add_nc_u64_e32 v[10:11], 1, v[10:11]
	ds_store_b64 v0, v[10:11] offset:872
.LBB4_701:                              ;   in Loop: Header=BB4_676 Depth=2
	s_or_b32 exec_lo, exec_lo, s13
	v_mov_b64_e32 v[114:115], v[8:9]
.LBB4_702:                              ;   in Loop: Header=BB4_676 Depth=2
	s_or_b32 exec_lo, exec_lo, s17
	s_xor_b32 s13, s16, -1
	s_delay_alu instid0(SALU_CYCLE_1) | instskip(NEXT) | instid1(SALU_CYCLE_1)
	s_and_b32 s13, exec_lo, s13
	s_or_b32 s15, s13, s15
	s_and_saveexec_b32 s13, s2
	s_cbranch_execz .LBB4_721
; %bb.703:                              ;   in Loop: Header=BB4_676 Depth=2
	s_and_saveexec_b32 s16, s3
	s_delay_alu instid0(SALU_CYCLE_1)
	s_xor_b32 s16, exec_lo, s16
	s_cbranch_execz .LBB4_718
; %bb.704:                              ;   in Loop: Header=BB4_676 Depth=2
	s_and_saveexec_b32 s17, s6
	s_cbranch_execz .LBB4_717
; %bb.705:                              ;   in Loop: Header=BB4_676 Depth=2
	s_mov_b32 s19, exec_lo
	s_mov_b32 s18, exec_lo
	v_mbcnt_lo_u32_b32 v3, s19, 0
	global_wb scope:SCOPE_DEV
	s_wait_storecnt 0x0
	s_wait_loadcnt_dscnt 0x0
	global_inv scope:SCOPE_DEV
	v_cmpx_eq_u32_e32 0, v3
	s_cbranch_execz .LBB4_707
; %bb.706:                              ;   in Loop: Header=BB4_676 Depth=2
	s_bcnt1_i32_b32 s19, s19
	s_delay_alu instid0(SALU_CYCLE_1)
	v_dual_mov_b32 v9, v2 :: v_dual_mov_b32 v8, s19
	s_wait_loadcnt 0x0
	ds_add_u64 v0, v[8:9]
	s_trap 2
.LBB4_707:                              ;   in Loop: Header=BB4_676 Depth=2
	s_or_b32 exec_lo, exec_lo, s18
	s_trap 2
	ds_load_b64 v[8:9], v0
	s_wait_dscnt 0x0
	v_add_nc_u64_e32 v[48:49], v[48:49], v[52:53]
	s_mov_b32 s18, exec_lo
	s_delay_alu instid0(VALU_DEP_1)
	v_cmpx_lt_u64_e64 v[8:9], v[48:49]
	s_cbranch_execz .LBB4_716
; %bb.708:                              ;   in Loop: Header=BB4_676 Depth=2
	s_mov_b32 s19, 0
	s_mov_b32 s24, 0
                                        ; implicit-def: $sgpr20
                                        ; implicit-def: $sgpr21
	s_branch .LBB4_710
.LBB4_709:                              ;   in Loop: Header=BB4_710 Depth=3
	s_or_b32 exec_lo, exec_lo, s72
	s_delay_alu instid0(SALU_CYCLE_1) | instskip(NEXT) | instid1(SALU_CYCLE_1)
	s_and_b32 s43, exec_lo, s73
	s_or_b32 s19, s43, s19
	s_and_not1_b32 s20, s20, exec_lo
	s_and_b32 s43, s21, exec_lo
	s_delay_alu instid0(SALU_CYCLE_1)
	s_or_b32 s20, s20, s43
	s_and_not1_b32 exec_lo, exec_lo, s19
	s_cbranch_execz .LBB4_714
.LBB4_710:                              ;   Parent Loop BB4_47 Depth=1
                                        ;     Parent Loop BB4_676 Depth=2
                                        ; =>    This Inner Loop Header: Depth=3
	s_add_co_i32 s24, s24, 1
	s_delay_alu instid0(SALU_CYCLE_1) | instskip(SKIP_1) | instid1(SALU_CYCLE_1)
	s_cmp_lg_u32 s24, 0x2710
	s_cselect_b32 s43, -1, 0
	s_and_b32 vcc_lo, exec_lo, s43
	s_cbranch_vccz .LBB4_712
; %bb.711:                              ;   in Loop: Header=BB4_710 Depth=3
	s_mov_b32 s73, -1
	s_or_b32 s21, s21, exec_lo
	s_and_saveexec_b32 s72, s43
	s_cbranch_execz .LBB4_709
	s_branch .LBB4_713
.LBB4_712:                              ;   in Loop: Header=BB4_710 Depth=3
	s_trap 2
	ds_load_b64 v[8:9], v0
	s_and_not1_b32 s43, s43, exec_lo
	s_mov_b32 s24, 0
	s_wait_loadcnt_dscnt 0x0
	flat_load_b32 v3, v[8:9] scope:SCOPE_SYS
	s_wait_loadcnt_dscnt 0x0
	global_inv scope:SCOPE_SYS
	v_cmp_eq_u32_e32 vcc_lo, 0, v3
	s_and_b32 s72, vcc_lo, exec_lo
	s_delay_alu instid0(SALU_CYCLE_1)
	s_or_b32 s43, s43, s72
	s_mov_b32 s73, -1
	s_or_b32 s21, s21, exec_lo
	s_and_saveexec_b32 s72, s43
	s_cbranch_execz .LBB4_709
.LBB4_713:                              ;   in Loop: Header=BB4_710 Depth=3
	s_sleep 1
	s_trap 2
	ds_load_b64 v[8:9], v0
	s_wait_dscnt 0x0
	s_and_not1_b32 s21, s21, exec_lo
	v_cmp_ge_u64_e32 vcc_lo, v[8:9], v[48:49]
	s_or_not1_b32 s73, vcc_lo, exec_lo
	s_branch .LBB4_709
.LBB4_714:                              ;   in Loop: Header=BB4_676 Depth=2
	s_or_b32 exec_lo, exec_lo, s19
	s_and_saveexec_b32 s19, s20
	s_delay_alu instid0(SALU_CYCLE_1)
	s_xor_b32 s19, exec_lo, s19
	s_cbranch_execz .LBB4_716
; %bb.715:                              ;   in Loop: Header=BB4_676 Depth=2
	ds_store_b32 v0, v107
	s_trap 2
.LBB4_716:                              ;   in Loop: Header=BB4_676 Depth=2
	s_or_b32 exec_lo, exec_lo, s18
	;;#ASMSTART
	s_wakeup
	;;#ASMEND
.LBB4_717:                              ;   in Loop: Header=BB4_676 Depth=2
	s_or_b32 exec_lo, exec_lo, s17
.LBB4_718:                              ;   in Loop: Header=BB4_676 Depth=2
	s_and_not1_saveexec_b32 s16, s16
	s_cbranch_execz .LBB4_720
; %bb.719:                              ;   in Loop: Header=BB4_676 Depth=2
	global_wb scope:SCOPE_DEV
	s_wait_storecnt 0x0
	s_wait_loadcnt_dscnt 0x0
	global_inv scope:SCOPE_DEV
	s_barrier_signal -1
	s_barrier_wait -1
.LBB4_720:                              ;   in Loop: Header=BB4_676 Depth=2
	s_or_b32 exec_lo, exec_lo, s16
.LBB4_721:                              ;   in Loop: Header=BB4_676 Depth=2
	s_delay_alu instid0(SALU_CYCLE_1) | instskip(SKIP_1) | instid1(SALU_CYCLE_1)
	s_or_b32 exec_lo, exec_lo, s13
                                        ; implicit-def: $vgpr3
	s_and_saveexec_b32 s13, s12
	s_xor_b32 s16, exec_lo, s13
	s_cbranch_execz .LBB4_725
; %bb.722:                              ;   in Loop: Header=BB4_676 Depth=2
	s_trap 2
	ds_load_b32 v3, v0
	v_cmp_lt_i32_e32 vcc_lo, 0, v40
	s_wait_dscnt 0x0
	v_readfirstlane_b32 s13, v3
	v_and_b32_e32 v3, 16, v30
	s_cmp_eq_u32 s13, 0
	s_delay_alu instid0(VALU_DEP_1) | instskip(SKIP_3) | instid1(SALU_CYCLE_1)
	v_cmp_ne_u32_e64 s13, 0, v3
	s_cselect_b32 s17, -1, 0
	v_and_b32_e32 v3, 16, v30
	s_and_b32 s17, vcc_lo, s17
	s_and_b32 s17, s13, s17
	s_delay_alu instid0(SALU_CYCLE_1)
	s_and_saveexec_b32 s13, s17
	s_cbranch_execz .LBB4_724
; %bb.723:                              ;   in Loop: Header=BB4_676 Depth=2
	v_mov_b32_e32 v3, 1
	global_wb scope:SCOPE_SYS
	s_wait_loadcnt 0x0
	s_wait_storecnt 0x0
	global_inv scope:SCOPE_SYS
.LBB4_724:                              ;   in Loop: Header=BB4_676 Depth=2
	s_or_b32 exec_lo, exec_lo, s13
	s_and_not1_saveexec_b32 s13, s16
	s_cbranch_execz .LBB4_744
	s_branch .LBB4_726
.LBB4_725:                              ;   in Loop: Header=BB4_676 Depth=2
	s_and_not1_saveexec_b32 s13, s16
	s_cbranch_execz .LBB4_744
.LBB4_726:                              ;   in Loop: Header=BB4_676 Depth=2
	s_and_saveexec_b32 s16, s3
	s_delay_alu instid0(SALU_CYCLE_1)
	s_xor_b32 s16, exec_lo, s16
	s_cbranch_execz .LBB4_741
; %bb.727:                              ;   in Loop: Header=BB4_676 Depth=2
	s_and_saveexec_b32 s17, s6
	s_cbranch_execz .LBB4_740
; %bb.728:                              ;   in Loop: Header=BB4_676 Depth=2
	s_mov_b32 s19, exec_lo
	s_mov_b32 s18, exec_lo
	v_mbcnt_lo_u32_b32 v3, s19, 0
	;;#ASMSTART
	s_waitcnt lgkmcnt(0) vmcnt(0)
	;;#ASMEND
	s_delay_alu instid0(VALU_DEP_1)
	v_cmpx_eq_u32_e32 0, v3
	s_cbranch_execz .LBB4_730
; %bb.729:                              ;   in Loop: Header=BB4_676 Depth=2
	s_bcnt1_i32_b32 s19, s19
	s_delay_alu instid0(SALU_CYCLE_1)
	v_dual_mov_b32 v9, v2 :: v_dual_mov_b32 v8, s19
	s_wait_storecnt 0x0
	s_wait_loadcnt_dscnt 0x0
	ds_add_u64 v0, v[8:9]
	s_trap 2
.LBB4_730:                              ;   in Loop: Header=BB4_676 Depth=2
	s_or_b32 exec_lo, exec_lo, s18
	s_trap 2
	ds_load_b64 v[8:9], v0
	s_wait_dscnt 0x0
	v_add_nc_u64_e32 v[48:49], v[48:49], v[52:53]
	s_mov_b32 s18, exec_lo
	s_delay_alu instid0(VALU_DEP_1)
	v_cmpx_lt_u64_e64 v[8:9], v[48:49]
	s_cbranch_execz .LBB4_739
; %bb.731:                              ;   in Loop: Header=BB4_676 Depth=2
	s_mov_b32 s19, 0
	s_mov_b32 s24, 0
                                        ; implicit-def: $sgpr20
                                        ; implicit-def: $sgpr21
	s_branch .LBB4_733
.LBB4_732:                              ;   in Loop: Header=BB4_733 Depth=3
	s_or_b32 exec_lo, exec_lo, s72
	s_delay_alu instid0(SALU_CYCLE_1) | instskip(NEXT) | instid1(SALU_CYCLE_1)
	s_and_b32 s43, exec_lo, s73
	s_or_b32 s19, s43, s19
	s_and_not1_b32 s20, s20, exec_lo
	s_and_b32 s43, s21, exec_lo
	s_delay_alu instid0(SALU_CYCLE_1)
	s_or_b32 s20, s20, s43
	s_and_not1_b32 exec_lo, exec_lo, s19
	s_cbranch_execz .LBB4_737
.LBB4_733:                              ;   Parent Loop BB4_47 Depth=1
                                        ;     Parent Loop BB4_676 Depth=2
                                        ; =>    This Inner Loop Header: Depth=3
	s_add_co_i32 s24, s24, 1
	s_delay_alu instid0(SALU_CYCLE_1) | instskip(SKIP_1) | instid1(SALU_CYCLE_1)
	s_cmp_lg_u32 s24, 0x2710
	s_cselect_b32 s43, -1, 0
	s_and_b32 vcc_lo, exec_lo, s43
	s_cbranch_vccz .LBB4_735
; %bb.734:                              ;   in Loop: Header=BB4_733 Depth=3
	s_mov_b32 s73, -1
	s_or_b32 s21, s21, exec_lo
	s_and_saveexec_b32 s72, s43
	s_cbranch_execz .LBB4_732
	s_branch .LBB4_736
.LBB4_735:                              ;   in Loop: Header=BB4_733 Depth=3
	s_trap 2
	ds_load_b64 v[8:9], v0
	s_and_not1_b32 s43, s43, exec_lo
	s_mov_b32 s24, 0
	s_wait_storecnt 0x0
	s_wait_loadcnt_dscnt 0x0
	flat_load_b32 v3, v[8:9] scope:SCOPE_SYS
	s_wait_loadcnt_dscnt 0x0
	global_inv scope:SCOPE_SYS
	v_cmp_eq_u32_e32 vcc_lo, 0, v3
	s_and_b32 s72, vcc_lo, exec_lo
	s_delay_alu instid0(SALU_CYCLE_1)
	s_or_b32 s43, s43, s72
	s_mov_b32 s73, -1
	s_or_b32 s21, s21, exec_lo
	s_and_saveexec_b32 s72, s43
	s_cbranch_execz .LBB4_732
.LBB4_736:                              ;   in Loop: Header=BB4_733 Depth=3
	s_sleep 1
	s_trap 2
	ds_load_b64 v[8:9], v0
	s_wait_dscnt 0x0
	s_and_not1_b32 s21, s21, exec_lo
	v_cmp_ge_u64_e32 vcc_lo, v[8:9], v[48:49]
	s_or_not1_b32 s73, vcc_lo, exec_lo
	s_branch .LBB4_732
.LBB4_737:                              ;   in Loop: Header=BB4_676 Depth=2
	s_or_b32 exec_lo, exec_lo, s19
	s_and_saveexec_b32 s19, s20
	s_delay_alu instid0(SALU_CYCLE_1)
	s_xor_b32 s19, exec_lo, s19
	s_cbranch_execz .LBB4_739
; %bb.738:                              ;   in Loop: Header=BB4_676 Depth=2
	ds_store_b32 v0, v107
	s_trap 2
.LBB4_739:                              ;   in Loop: Header=BB4_676 Depth=2
	s_or_b32 exec_lo, exec_lo, s18
	;;#ASMSTART
	s_wakeup
	;;#ASMEND
.LBB4_740:                              ;   in Loop: Header=BB4_676 Depth=2
	s_or_b32 exec_lo, exec_lo, s17
.LBB4_741:                              ;   in Loop: Header=BB4_676 Depth=2
	s_and_not1_saveexec_b32 s16, s16
	s_cbranch_execz .LBB4_743
; %bb.742:                              ;   in Loop: Header=BB4_676 Depth=2
	;;#ASMSTART
	s_waitcnt lgkmcnt(0) vmcnt(0)
	;;#ASMEND
	s_barrier_signal -1
	s_barrier_wait -1
.LBB4_743:                              ;   in Loop: Header=BB4_676 Depth=2
	s_or_b32 exec_lo, exec_lo, s16
	v_and_b32_e32 v3, 16, v30
.LBB4_744:                              ;   in Loop: Header=BB4_676 Depth=2
	s_or_b32 exec_lo, exec_lo, s13
	s_delay_alu instid0(VALU_DEP_1) | instskip(SKIP_1) | instid1(SALU_CYCLE_1)
	v_cmp_ne_u32_e32 vcc_lo, 0, v3
	s_xor_b32 s13, s4, -1
	s_and_b32 s16, vcc_lo, s13
	s_delay_alu instid0(SALU_CYCLE_1)
	s_and_saveexec_b32 s13, s16
	s_cbranch_execz .LBB4_746
; %bb.745:                              ;   in Loop: Header=BB4_676 Depth=2
	global_wb scope:SCOPE_SYS
	s_wait_storecnt 0x0
	s_wait_loadcnt_dscnt 0x0
	flat_store_b32 v[38:39], v107 scope:SCOPE_SYS
.LBB4_746:                              ;   in Loop: Header=BB4_676 Depth=2
	s_wait_xcnt 0x0
	s_or_b32 exec_lo, exec_lo, s13
	v_and_b32_e32 v3, 48, v30
	s_mov_b32 s13, exec_lo
	s_delay_alu instid0(VALU_DEP_1)
	v_cmpx_ne_u32_e32 0, v3
	s_cbranch_execz .LBB4_675
; %bb.747:                              ;   in Loop: Header=BB4_676 Depth=2
	v_add_nc_u64_e32 v[114:115], 2, v[114:115]
	global_wb scope:SCOPE_SYS
	s_wait_storecnt 0x0
	s_wait_loadcnt_dscnt 0x0
	flat_store_b64 v[32:33], v[114:115] scope:SCOPE_SYS
	s_branch .LBB4_675
.LBB4_748:                              ;   in Loop: Header=BB4_47 Depth=1
	s_or_b32 exec_lo, exec_lo, s15
.LBB4_749:                              ;   in Loop: Header=BB4_47 Depth=1
	s_delay_alu instid0(SALU_CYCLE_1) | instskip(NEXT) | instid1(SALU_CYCLE_1)
	s_or_b32 exec_lo, exec_lo, s14
	s_and_not1_b32 vcc_lo, exec_lo, s58
	s_cbranch_vccnz .LBB4_1006
; %bb.750:                              ;   in Loop: Header=BB4_47 Depth=1
	s_mov_b32 s18, 1
.LBB4_751:                              ;   Parent Loop BB4_47 Depth=1
                                        ; =>  This Loop Header: Depth=2
                                        ;       Child Loop BB4_754 Depth 3
                                        ;         Child Loop BB4_762 Depth 4
                                        ;         Child Loop BB4_790 Depth 4
	;; [unrolled: 1-line block ×5, first 2 shown]
                                        ;           Child Loop BB4_842 Depth 5
                                        ;         Child Loop BB4_849 Depth 4
                                        ;         Child Loop BB4_854 Depth 4
                                        ;           Child Loop BB4_855 Depth 5
                                        ;         Child Loop BB4_867 Depth 4
                                        ;         Child Loop BB4_872 Depth 4
	;; [unrolled: 1-line block ×6, first 2 shown]
                                        ;       Child Loop BB4_931 Depth 3
                                        ;         Child Loop BB4_937 Depth 4
                                        ;         Child Loop BB4_965 Depth 4
	;; [unrolled: 1-line block ×3, first 2 shown]
	s_delay_alu instid0(SALU_CYCLE_1) | instskip(SKIP_4) | instid1(SALU_CYCLE_1)
	s_sub_co_i32 s13, s56, s18
	s_mov_b32 s20, 0
	s_cmp_ge_i32 s13, s22
	v_mov_b32_e32 v14, 0
	s_cselect_b32 s14, s22, 0
	s_sub_co_i32 s14, s13, s14
	s_delay_alu instid0(SALU_CYCLE_1) | instskip(NEXT) | instid1(SALU_CYCLE_1)
	s_ashr_i32 s15, s14, 31
	v_mul_u64_e32 v[8:9], s[14:15], v[112:113]
	s_delay_alu instid0(VALU_DEP_1) | instskip(NEXT) | instid1(VALU_DEP_1)
	v_sub_nc_u64_e32 v[10:11], v[116:117], v[8:9]
	v_min_i64 v[12:13], v[112:113], v[10:11]
	s_delay_alu instid0(VALU_DEP_1) | instskip(SKIP_1) | instid1(VALU_DEP_2)
	v_max_i32_e32 v3, 0, v12
	v_cmp_lt_i32_e32 vcc_lo, 0, v12
	v_add_nc_u32_e32 v10, 31, v3
	s_and_b32 s13, s61, vcc_lo
	s_delay_alu instid0(VALU_DEP_1) | instskip(NEXT) | instid1(VALU_DEP_1)
	v_lshrrev_b32_e32 v10, 1, v10
	v_and_b32_e32 v11, 0x3ffffff0, v10
	s_delay_alu instid0(VALU_DEP_1)
	v_dual_mov_b32 v10, 0 :: v_dual_max_i32 v12, s57, v11
	s_and_saveexec_b32 s19, s13
	s_cbranch_execz .LBB4_928
; %bb.752:                              ;   in Loop: Header=BB4_751 Depth=2
	v_add_nc_u64_e32 v[8:9], v[8:9], v[118:119]
	v_mov_b32_e32 v14, 0
	s_mov_b32 s24, 1
	s_mov_b32 s21, -1
	s_delay_alu instid0(VALU_DEP_2)
	v_lshlrev_b64_e32 v[16:17], 2, v[8:9]
	s_branch .LBB4_754
.LBB4_753:                              ;   in Loop: Header=BB4_754 Depth=3
	s_wait_xcnt 0x0
	s_or_b32 exec_lo, exec_lo, s13
	v_dual_add_nc_u32 v14, v12, v14 :: v_dual_mov_b32 v10, s24
	s_xor_b32 s13, s21, -1
	s_mov_b32 s21, 0
	s_mov_b32 s24, 2
	s_delay_alu instid0(VALU_DEP_1) | instskip(SKIP_1) | instid1(SALU_CYCLE_1)
	v_cmp_ge_i32_e32 vcc_lo, v14, v3
	s_or_b32 s13, s13, vcc_lo
	s_and_b32 s13, exec_lo, s13
	s_delay_alu instid0(SALU_CYCLE_1) | instskip(NEXT) | instid1(SALU_CYCLE_1)
	s_or_b32 s20, s13, s20
	s_and_not1_b32 exec_lo, exec_lo, s20
	s_cbranch_execz .LBB4_927
.LBB4_754:                              ;   Parent Loop BB4_47 Depth=1
                                        ;     Parent Loop BB4_751 Depth=2
                                        ; =>    This Loop Header: Depth=3
                                        ;         Child Loop BB4_762 Depth 4
                                        ;         Child Loop BB4_790 Depth 4
	;; [unrolled: 1-line block ×5, first 2 shown]
                                        ;           Child Loop BB4_842 Depth 5
                                        ;         Child Loop BB4_849 Depth 4
                                        ;         Child Loop BB4_854 Depth 4
                                        ;           Child Loop BB4_855 Depth 5
                                        ;         Child Loop BB4_867 Depth 4
                                        ;         Child Loop BB4_872 Depth 4
	;; [unrolled: 1-line block ×6, first 2 shown]
	s_and_saveexec_b32 s13, s0
	s_cbranch_execz .LBB4_756
; %bb.755:                              ;   in Loop: Header=BB4_754 Depth=3
	s_trap 2
	ds_load_b128 v[8:11], v0
	s_wait_dscnt 0x0
	v_cmp_ne_u64_e32 vcc_lo, 0, v[10:11]
	v_ashrrev_i32_e32 v15, 31, v14
	v_add_nc_u64_e32 v[20:21], v[10:11], v[16:17]
	v_add_nc_u64_e32 v[8:9], v[8:9], v[16:17]
	s_delay_alu instid0(VALU_DEP_3) | instskip(NEXT) | instid1(VALU_DEP_1)
	v_lshlrev_b64_e32 v[18:19], 2, v[14:15]
	v_add_nc_u64_e32 v[20:21], v[20:21], v[18:19]
	s_delay_alu instid0(VALU_DEP_3) | instskip(NEXT) | instid1(VALU_DEP_2)
	v_add_nc_u64_e32 v[8:9], v[8:9], v[18:19]
	v_dual_cndmask_b32 v11, 0, v21 :: v_dual_cndmask_b32 v10, 0, v20
	ds_store_b64 v0, v[8:9]
	ds_store_b64 v0, v[10:11]
.LBB4_756:                              ;   in Loop: Header=BB4_754 Depth=3
	s_or_b32 exec_lo, exec_lo, s13
	v_sub_nc_u32_e32 v8, v3, v14
	v_and_b32_e32 v9, 12, v30
	s_mov_b32 s14, exec_lo
	s_delay_alu instid0(VALU_DEP_2) | instskip(NEXT) | instid1(VALU_DEP_2)
	v_min_i32_e32 v12, v12, v8
	v_cmpx_ne_u32_e32 0, v9
	s_cbranch_execz .LBB4_782
; %bb.757:                              ;   in Loop: Header=BB4_754 Depth=3
	v_dual_mov_b32 v11, v2 :: v_dual_bitop2_b32 v10, 8, v30 bitop3:0x40
	v_add_nc_u64_e32 v[8:9], 2, v[114:115]
	s_mov_b32 s15, exec_lo
	s_wait_loadcnt_dscnt 0x1
	s_delay_alu instid0(VALU_DEP_2) | instskip(NEXT) | instid1(VALU_DEP_1)
	v_add_nc_u64_e32 v[18:19], v[50:51], v[10:11]
	v_cmpx_lt_u64_e64 v[18:19], v[8:9]
	s_cbranch_execz .LBB4_769
; %bb.758:                              ;   in Loop: Header=BB4_754 Depth=3
	v_and_b32_e32 v13, 64, v30
	s_mov_b32 s16, 0
	s_mov_b32 s73, 0
                                        ; implicit-def: $sgpr17
                                        ; implicit-def: $sgpr43
                                        ; implicit-def: $sgpr72
	s_delay_alu instid0(VALU_DEP_1)
	v_cmp_eq_u32_e32 vcc_lo, 0, v13
	s_branch .LBB4_762
.LBB4_759:                              ;   in Loop: Header=BB4_762 Depth=4
	s_wait_loadcnt_dscnt 0x0
	v_add_nc_u64_e32 v[18:19], v[50:51], v[10:11]
	s_or_b32 s76, s76, exec_lo
	s_delay_alu instid0(VALU_DEP_1)
	v_cmp_ge_u64_e64 s13, v[18:19], v[8:9]
	s_or_not1_b32 s75, s13, exec_lo
.LBB4_760:                              ;   in Loop: Header=BB4_762 Depth=4
	s_or_b32 exec_lo, exec_lo, s78
	s_delay_alu instid0(SALU_CYCLE_1)
	s_and_not1_b32 s13, s72, exec_lo
	s_and_b32 s72, s76, exec_lo
	s_and_not1_b32 s43, s43, exec_lo
	s_and_b32 s75, s75, exec_lo
	s_or_b32 s72, s13, s72
	s_or_b32 s43, s43, s75
.LBB4_761:                              ;   in Loop: Header=BB4_762 Depth=4
	s_or_b32 exec_lo, exec_lo, s74
	s_delay_alu instid0(SALU_CYCLE_1) | instskip(NEXT) | instid1(SALU_CYCLE_1)
	s_and_b32 s13, exec_lo, s43
	s_or_b32 s16, s13, s16
	s_and_not1_b32 s13, s17, exec_lo
	s_and_b32 s17, s72, exec_lo
	s_delay_alu instid0(SALU_CYCLE_1)
	s_or_b32 s17, s13, s17
	s_and_not1_b32 exec_lo, exec_lo, s16
	s_cbranch_execz .LBB4_766
.LBB4_762:                              ;   Parent Loop BB4_47 Depth=1
                                        ;     Parent Loop BB4_751 Depth=2
                                        ;       Parent Loop BB4_754 Depth=3
                                        ; =>      This Inner Loop Header: Depth=4
	s_sleep 1
	s_wait_loadcnt_dscnt 0x0
	flat_load_b64 v[50:51], v[32:33] scope:SCOPE_SYS
	s_or_b32 s72, s72, exec_lo
	s_or_b32 s43, s43, exec_lo
                                        ; implicit-def: $vgpr13
	s_wait_xcnt 0x0
	s_and_saveexec_b32 s74, vcc_lo
	s_cbranch_execz .LBB4_761
; %bb.763:                              ;   in Loop: Header=BB4_762 Depth=4
	s_cmp_lt_i32 s73, 0x270f
	s_mov_b32 s75, -1
	s_cselect_b32 s77, -1, 0
	s_cmp_gt_i32 s73, 0x270e
	s_cbranch_scc0 .LBB4_765
; %bb.764:                              ;   in Loop: Header=BB4_762 Depth=4
	s_trap 2
	ds_load_b64 v[18:19], v0
	s_and_not1_b32 s73, s77, exec_lo
	s_mov_b32 s76, 0
	s_wait_storecnt 0x0
	s_wait_loadcnt_dscnt 0x0
	flat_load_b32 v13, v[18:19] scope:SCOPE_SYS
	s_wait_loadcnt_dscnt 0x0
	global_inv scope:SCOPE_SYS
	v_cmp_eq_u32_e64 s13, 0, v13
	s_and_b32 s13, s13, exec_lo
	s_delay_alu instid0(SALU_CYCLE_1)
	s_or_b32 s77, s73, s13
	s_mov_b32 s73, 0
	s_and_saveexec_b32 s78, s77
	s_cbranch_execz .LBB4_760
	s_branch .LBB4_759
.LBB4_765:                              ;   in Loop: Header=BB4_762 Depth=4
	s_add_co_i32 s73, s73, 1
	s_mov_b32 s76, -1
                                        ; implicit-def: $vgpr13
	s_and_saveexec_b32 s78, s77
	s_cbranch_execz .LBB4_760
	s_branch .LBB4_759
.LBB4_766:                              ;   in Loop: Header=BB4_754 Depth=3
	s_or_b32 exec_lo, exec_lo, s16
	s_xor_b32 s13, s17, -1
	s_delay_alu instid0(SALU_CYCLE_1) | instskip(NEXT) | instid1(SALU_CYCLE_1)
	s_and_saveexec_b32 s16, s13
	s_xor_b32 s13, exec_lo, s16
	s_cbranch_execz .LBB4_768
; %bb.767:                              ;   in Loop: Header=BB4_754 Depth=3
	v_or_b32_e32 v30, 64, v30
	s_wait_storecnt 0x0
	s_wait_loadcnt_dscnt 0x0
	ds_store_b32 v0, v13
	s_trap 2
.LBB4_768:                              ;   in Loop: Header=BB4_754 Depth=3
	s_or_b32 exec_lo, exec_lo, s13
.LBB4_769:                              ;   in Loop: Header=BB4_754 Depth=3
	s_delay_alu instid0(SALU_CYCLE_1) | instskip(SKIP_3) | instid1(VALU_DEP_1)
	s_or_b32 exec_lo, exec_lo, s15
	v_and_b32_e32 v11, 0x108, v30
	s_mov_b32 s13, exec_lo
	;;#ASMSTART
	s_wakeup
	;;#ASMEND
                                        ; implicit-def: $vgpr18_vgpr19
	v_cmpx_ne_u32_e32 0x108, v11
	s_xor_b32 s13, exec_lo, s13
; %bb.770:                              ;   in Loop: Header=BB4_754 Depth=3
	v_dual_mov_b32 v19, v2 :: v_dual_bitop2_b32 v18, 7, v114 bitop3:0x40
                                        ; implicit-def: $vgpr114_vgpr115
; %bb.771:                              ;   in Loop: Header=BB4_754 Depth=3
	s_and_not1_saveexec_b32 s13, s13
	s_cbranch_execz .LBB4_773
; %bb.772:                              ;   in Loop: Header=BB4_754 Depth=3
	v_dual_ashrrev_i32 v13, 31, v12 :: v_dual_bitop2_b32 v18, 7, v114 bitop3:0x40
	v_mov_b32_e32 v19, v2
	s_delay_alu instid0(VALU_DEP_2) | instskip(NEXT) | instid1(VALU_DEP_3)
	v_mad_nc_u64_u32 v[20:21], v18, 24, v[6:7]
	v_lshlrev_b64_e32 v[22:23], 2, v[12:13]
	flat_store_b64 v[20:21], v[22:23] offset:8
.LBB4_773:                              ;   in Loop: Header=BB4_754 Depth=3
	s_wait_xcnt 0x0
	s_or_b32 exec_lo, exec_lo, s13
	v_and_b32_e32 v11, 0x100, v30
	s_mov_b32 s13, -1
	s_mov_b32 s15, exec_lo
                                        ; implicit-def: $vgpr20_vgpr21
	s_delay_alu instid0(VALU_DEP_1)
	v_cmpx_ne_u32_e32 0, v11
	s_cbranch_execz .LBB4_777
; %bb.774:                              ;   in Loop: Header=BB4_754 Depth=3
	v_mad_nc_u64_u32 v[22:23], v18, 24, v[6:7]
	s_mov_b32 s16, exec_lo
                                        ; implicit-def: $vgpr20_vgpr21
	s_delay_alu instid0(VALU_DEP_1)
	v_mad_u32 v23, v19, 24, v23
	flat_load_b32 v11, v[22:23]
	s_wait_loadcnt_dscnt 0x0
	v_cmp_ne_u32_e32 vcc_lo, 1, v11
	s_wait_xcnt 0x0
	v_cmpx_eq_u32_e32 1, v11
	s_cbranch_execz .LBB4_776
; %bb.775:                              ;   in Loop: Header=BB4_754 Depth=3
	flat_load_b32 v20, v[22:23] offset:4 scope:SCOPE_SYS
	s_wait_loadcnt_dscnt 0x0
	v_ashrrev_i32_e32 v21, 31, v20
	s_delay_alu instid0(VALU_DEP_1)
	v_lshrrev_b64 v[20:21], 2, v[20:21]
.LBB4_776:                              ;   in Loop: Header=BB4_754 Depth=3
	s_wait_xcnt 0x0
	s_or_b32 exec_lo, exec_lo, s16
	s_delay_alu instid0(SALU_CYCLE_1)
	s_or_not1_b32 s13, vcc_lo, exec_lo
.LBB4_777:                              ;   in Loop: Header=BB4_754 Depth=3
	s_or_b32 exec_lo, exec_lo, s15
	s_and_saveexec_b32 s15, s13
; %bb.778:                              ;   in Loop: Header=BB4_754 Depth=3
	v_mul_u64_e32 v[20:21], v[18:19], v[34:35]
; %bb.779:                              ;   in Loop: Header=BB4_754 Depth=3
	s_or_b32 exec_lo, exec_lo, s15
	v_cmp_eq_u32_e32 vcc_lo, 0, v10
	v_and_b32_e32 v15, 0x2000, v30
	s_delay_alu instid0(VALU_DEP_3) | instskip(SKIP_2) | instid1(VALU_DEP_1)
	v_lshl_add_u64 v[10:11], v[20:21], 2, v[36:37]
	s_mov_b32 s13, exec_lo
	v_cndmask_b32_e32 v13, 0xd0, v109, vcc_lo
	v_add_nc_u32_e32 v13, v0, v13
	ds_store_b64 v13, v[10:11] offset:584
	v_cmpx_ne_u32_e32 0, v15
	s_cbranch_execz .LBB4_781
; %bb.780:                              ;   in Loop: Header=BB4_754 Depth=3
	ds_load_b64 v[10:11], v0 offset:872
	s_wait_dscnt 0x0
	v_add_nc_u64_e32 v[10:11], 1, v[10:11]
	ds_store_b64 v0, v[10:11] offset:872
.LBB4_781:                              ;   in Loop: Header=BB4_754 Depth=3
	s_or_b32 exec_lo, exec_lo, s13
	v_mov_b64_e32 v[114:115], v[8:9]
.LBB4_782:                              ;   in Loop: Header=BB4_754 Depth=3
	s_or_b32 exec_lo, exec_lo, s14
	s_and_saveexec_b32 s13, s2
	s_cbranch_execz .LBB4_801
; %bb.783:                              ;   in Loop: Header=BB4_754 Depth=3
	s_and_saveexec_b32 s14, s3
	s_delay_alu instid0(SALU_CYCLE_1)
	s_xor_b32 s14, exec_lo, s14
	s_cbranch_execz .LBB4_798
; %bb.784:                              ;   in Loop: Header=BB4_754 Depth=3
	s_and_saveexec_b32 s15, s6
	s_cbranch_execz .LBB4_797
; %bb.785:                              ;   in Loop: Header=BB4_754 Depth=3
	s_mov_b32 s17, exec_lo
	s_mov_b32 s16, exec_lo
	v_mbcnt_lo_u32_b32 v8, s17, 0
	global_wb scope:SCOPE_DEV
	s_wait_storecnt 0x0
	s_wait_loadcnt_dscnt 0x0
	global_inv scope:SCOPE_DEV
	v_cmpx_eq_u32_e32 0, v8
	s_cbranch_execz .LBB4_787
; %bb.786:                              ;   in Loop: Header=BB4_754 Depth=3
	s_bcnt1_i32_b32 s17, s17
	s_delay_alu instid0(SALU_CYCLE_1)
	v_dual_mov_b32 v9, v2 :: v_dual_mov_b32 v8, s17
	s_wait_loadcnt 0x0
	ds_add_u64 v0, v[8:9]
	s_trap 2
.LBB4_787:                              ;   in Loop: Header=BB4_754 Depth=3
	s_or_b32 exec_lo, exec_lo, s16
	s_trap 2
	ds_load_b64 v[8:9], v0
	s_wait_dscnt 0x0
	v_add_nc_u64_e32 v[48:49], v[48:49], v[52:53]
	s_mov_b32 s16, exec_lo
	s_delay_alu instid0(VALU_DEP_1)
	v_cmpx_lt_u64_e64 v[8:9], v[48:49]
	s_cbranch_execz .LBB4_796
; %bb.788:                              ;   in Loop: Header=BB4_754 Depth=3
	s_mov_b32 s17, 0
	s_mov_b32 s73, 0
                                        ; implicit-def: $sgpr43
                                        ; implicit-def: $sgpr72
	s_branch .LBB4_790
.LBB4_789:                              ;   in Loop: Header=BB4_790 Depth=4
	s_or_b32 exec_lo, exec_lo, s75
	s_delay_alu instid0(SALU_CYCLE_1) | instskip(NEXT) | instid1(SALU_CYCLE_1)
	s_and_b32 s74, exec_lo, s76
	s_or_b32 s17, s74, s17
	s_and_not1_b32 s43, s43, exec_lo
	s_and_b32 s74, s72, exec_lo
	s_delay_alu instid0(SALU_CYCLE_1)
	s_or_b32 s43, s43, s74
	s_and_not1_b32 exec_lo, exec_lo, s17
	s_cbranch_execz .LBB4_794
.LBB4_790:                              ;   Parent Loop BB4_47 Depth=1
                                        ;     Parent Loop BB4_751 Depth=2
                                        ;       Parent Loop BB4_754 Depth=3
                                        ; =>      This Inner Loop Header: Depth=4
	s_add_co_i32 s73, s73, 1
	s_delay_alu instid0(SALU_CYCLE_1) | instskip(SKIP_1) | instid1(SALU_CYCLE_1)
	s_cmp_lg_u32 s73, 0x2710
	s_cselect_b32 s74, -1, 0
	s_and_b32 vcc_lo, exec_lo, s74
	s_cbranch_vccz .LBB4_792
; %bb.791:                              ;   in Loop: Header=BB4_790 Depth=4
	s_mov_b32 s76, -1
	s_or_b32 s72, s72, exec_lo
	s_and_saveexec_b32 s75, s74
	s_cbranch_execz .LBB4_789
	s_branch .LBB4_793
.LBB4_792:                              ;   in Loop: Header=BB4_790 Depth=4
	s_trap 2
	ds_load_b64 v[8:9], v0
	s_and_not1_b32 s74, s74, exec_lo
	s_mov_b32 s73, 0
	s_wait_loadcnt_dscnt 0x0
	flat_load_b32 v8, v[8:9] scope:SCOPE_SYS
	s_wait_loadcnt_dscnt 0x0
	global_inv scope:SCOPE_SYS
	v_cmp_eq_u32_e32 vcc_lo, 0, v8
	s_and_b32 s75, vcc_lo, exec_lo
	s_delay_alu instid0(SALU_CYCLE_1)
	s_or_b32 s74, s74, s75
	s_mov_b32 s76, -1
	s_or_b32 s72, s72, exec_lo
	s_and_saveexec_b32 s75, s74
	s_cbranch_execz .LBB4_789
.LBB4_793:                              ;   in Loop: Header=BB4_790 Depth=4
	s_sleep 1
	s_trap 2
	ds_load_b64 v[8:9], v0
	s_wait_dscnt 0x0
	s_and_not1_b32 s72, s72, exec_lo
	v_cmp_ge_u64_e32 vcc_lo, v[8:9], v[48:49]
	s_or_not1_b32 s76, vcc_lo, exec_lo
	s_branch .LBB4_789
.LBB4_794:                              ;   in Loop: Header=BB4_754 Depth=3
	s_or_b32 exec_lo, exec_lo, s17
	s_and_saveexec_b32 s17, s43
	s_delay_alu instid0(SALU_CYCLE_1)
	s_xor_b32 s17, exec_lo, s17
	s_cbranch_execz .LBB4_796
; %bb.795:                              ;   in Loop: Header=BB4_754 Depth=3
	ds_store_b32 v0, v107
	s_trap 2
.LBB4_796:                              ;   in Loop: Header=BB4_754 Depth=3
	s_or_b32 exec_lo, exec_lo, s16
	;;#ASMSTART
	s_wakeup
	;;#ASMEND
.LBB4_797:                              ;   in Loop: Header=BB4_754 Depth=3
	s_or_b32 exec_lo, exec_lo, s15
.LBB4_798:                              ;   in Loop: Header=BB4_754 Depth=3
	s_and_not1_saveexec_b32 s14, s14
	s_cbranch_execz .LBB4_800
; %bb.799:                              ;   in Loop: Header=BB4_754 Depth=3
	global_wb scope:SCOPE_DEV
	s_wait_storecnt 0x0
	s_wait_loadcnt_dscnt 0x0
	global_inv scope:SCOPE_DEV
	s_barrier_signal -1
	s_barrier_wait -1
.LBB4_800:                              ;   in Loop: Header=BB4_754 Depth=3
	s_or_b32 exec_lo, exec_lo, s14
.LBB4_801:                              ;   in Loop: Header=BB4_754 Depth=3
	s_delay_alu instid0(SALU_CYCLE_1) | instskip(SKIP_4) | instid1(VALU_DEP_1)
	s_or_b32 exec_lo, exec_lo, s13
	s_trap 2
	ds_load_b32 v8, v0
	v_and_b32_e32 v9, 0x4000, v30
	s_xor_b32 s13, s1, -1
	v_cmp_ne_u32_e32 vcc_lo, 0, v9
	s_and_b32 s14, s13, vcc_lo
	s_delay_alu instid0(SALU_CYCLE_1)
	s_and_saveexec_b32 s13, s14
	s_cbranch_execz .LBB4_820
; %bb.802:                              ;   in Loop: Header=BB4_754 Depth=3
	s_and_saveexec_b32 s14, s3
	s_delay_alu instid0(SALU_CYCLE_1)
	s_xor_b32 s14, exec_lo, s14
	s_cbranch_execz .LBB4_817
; %bb.803:                              ;   in Loop: Header=BB4_754 Depth=3
	s_and_saveexec_b32 s15, s6
	s_cbranch_execz .LBB4_816
; %bb.804:                              ;   in Loop: Header=BB4_754 Depth=3
	s_mov_b32 s17, exec_lo
	s_mov_b32 s16, exec_lo
	v_mbcnt_lo_u32_b32 v9, s17, 0
	global_wb scope:SCOPE_DEV
	s_wait_storecnt 0x0
	s_wait_loadcnt_dscnt 0x0
	global_inv scope:SCOPE_DEV
	v_cmpx_eq_u32_e32 0, v9
	s_cbranch_execz .LBB4_806
; %bb.805:                              ;   in Loop: Header=BB4_754 Depth=3
	s_bcnt1_i32_b32 s17, s17
	s_delay_alu instid0(SALU_CYCLE_1)
	v_dual_mov_b32 v11, v2 :: v_dual_mov_b32 v10, s17
	s_wait_loadcnt 0x0
	ds_add_u64 v0, v[10:11]
	s_trap 2
.LBB4_806:                              ;   in Loop: Header=BB4_754 Depth=3
	s_or_b32 exec_lo, exec_lo, s16
	s_trap 2
	ds_load_b64 v[10:11], v0
	s_wait_dscnt 0x0
	v_add_nc_u64_e32 v[48:49], v[48:49], v[52:53]
	s_mov_b32 s16, exec_lo
	s_delay_alu instid0(VALU_DEP_1)
	v_cmpx_lt_u64_e64 v[10:11], v[48:49]
	s_cbranch_execz .LBB4_815
; %bb.807:                              ;   in Loop: Header=BB4_754 Depth=3
	s_mov_b32 s17, 0
	s_mov_b32 s73, 0
                                        ; implicit-def: $sgpr43
                                        ; implicit-def: $sgpr72
	s_branch .LBB4_809
.LBB4_808:                              ;   in Loop: Header=BB4_809 Depth=4
	s_or_b32 exec_lo, exec_lo, s75
	s_delay_alu instid0(SALU_CYCLE_1) | instskip(NEXT) | instid1(SALU_CYCLE_1)
	s_and_b32 s74, exec_lo, s76
	s_or_b32 s17, s74, s17
	s_and_not1_b32 s43, s43, exec_lo
	s_and_b32 s74, s72, exec_lo
	s_delay_alu instid0(SALU_CYCLE_1)
	s_or_b32 s43, s43, s74
	s_and_not1_b32 exec_lo, exec_lo, s17
	s_cbranch_execz .LBB4_813
.LBB4_809:                              ;   Parent Loop BB4_47 Depth=1
                                        ;     Parent Loop BB4_751 Depth=2
                                        ;       Parent Loop BB4_754 Depth=3
                                        ; =>      This Inner Loop Header: Depth=4
	s_add_co_i32 s73, s73, 1
	s_delay_alu instid0(SALU_CYCLE_1) | instskip(SKIP_1) | instid1(SALU_CYCLE_1)
	s_cmp_lg_u32 s73, 0x2710
	s_cselect_b32 s74, -1, 0
	s_and_b32 vcc_lo, exec_lo, s74
	s_cbranch_vccz .LBB4_811
; %bb.810:                              ;   in Loop: Header=BB4_809 Depth=4
	s_mov_b32 s76, -1
	s_or_b32 s72, s72, exec_lo
	s_and_saveexec_b32 s75, s74
	s_cbranch_execz .LBB4_808
	s_branch .LBB4_812
.LBB4_811:                              ;   in Loop: Header=BB4_809 Depth=4
	s_trap 2
	ds_load_b64 v[10:11], v0
	s_and_not1_b32 s74, s74, exec_lo
	s_mov_b32 s73, 0
	s_wait_loadcnt_dscnt 0x0
	flat_load_b32 v9, v[10:11] scope:SCOPE_SYS
	s_wait_loadcnt_dscnt 0x0
	global_inv scope:SCOPE_SYS
	v_cmp_eq_u32_e32 vcc_lo, 0, v9
	s_and_b32 s75, vcc_lo, exec_lo
	s_delay_alu instid0(SALU_CYCLE_1)
	s_or_b32 s74, s74, s75
	s_mov_b32 s76, -1
	s_or_b32 s72, s72, exec_lo
	s_and_saveexec_b32 s75, s74
	s_cbranch_execz .LBB4_808
.LBB4_812:                              ;   in Loop: Header=BB4_809 Depth=4
	s_sleep 1
	s_trap 2
	ds_load_b64 v[10:11], v0
	s_wait_dscnt 0x0
	s_and_not1_b32 s72, s72, exec_lo
	v_cmp_ge_u64_e32 vcc_lo, v[10:11], v[48:49]
	s_or_not1_b32 s76, vcc_lo, exec_lo
	s_branch .LBB4_808
.LBB4_813:                              ;   in Loop: Header=BB4_754 Depth=3
	s_or_b32 exec_lo, exec_lo, s17
	s_and_saveexec_b32 s17, s43
	s_delay_alu instid0(SALU_CYCLE_1)
	s_xor_b32 s17, exec_lo, s17
	s_cbranch_execz .LBB4_815
; %bb.814:                              ;   in Loop: Header=BB4_754 Depth=3
	ds_store_b32 v0, v107
	s_trap 2
.LBB4_815:                              ;   in Loop: Header=BB4_754 Depth=3
	s_or_b32 exec_lo, exec_lo, s16
	;;#ASMSTART
	s_wakeup
	;;#ASMEND
.LBB4_816:                              ;   in Loop: Header=BB4_754 Depth=3
	s_or_b32 exec_lo, exec_lo, s15
.LBB4_817:                              ;   in Loop: Header=BB4_754 Depth=3
	s_and_not1_saveexec_b32 s14, s14
	s_cbranch_execz .LBB4_819
; %bb.818:                              ;   in Loop: Header=BB4_754 Depth=3
	global_wb scope:SCOPE_DEV
	s_wait_storecnt 0x0
	s_wait_loadcnt_dscnt 0x0
	global_inv scope:SCOPE_DEV
	s_barrier_signal -1
	s_barrier_wait -1
.LBB4_819:                              ;   in Loop: Header=BB4_754 Depth=3
	s_or_b32 exec_lo, exec_lo, s14
.LBB4_820:                              ;   in Loop: Header=BB4_754 Depth=3
	s_delay_alu instid0(SALU_CYCLE_1)
	s_or_b32 exec_lo, exec_lo, s13
	s_trap 2
	ds_load_b64 v[18:19], v0
	s_wait_dscnt 0x0
	v_cmp_eq_u64_e32 vcc_lo, 0, v[18:19]
	s_cbranch_vccnz .LBB4_829
; %bb.821:                              ;   in Loop: Header=BB4_754 Depth=3
	s_trap 2
	ds_load_b64 v[20:21], v0
	s_wait_dscnt 0x0
	v_cmp_eq_u64_e32 vcc_lo, 0, v[20:21]
	s_cbranch_vccnz .LBB4_829
; %bb.822:                              ;   in Loop: Header=BB4_754 Depth=3
	s_trap 2
	ds_load_b64 v[22:23], v0
	v_cmp_eq_u32_e32 vcc_lo, 0, v8
	s_mov_b32 s13, -1
	v_cndmask_b32_e32 v13, 0, v12, vcc_lo
	s_delay_alu instid0(VALU_DEP_1)
	v_lshlrev_b32_e32 v15, 2, v13
	s_wait_dscnt 0x0
	v_cmp_ne_u64_e32 vcc_lo, 0, v[22:23]
	s_cbranch_vccz .LBB4_858
; %bb.823:                              ;   in Loop: Header=BB4_754 Depth=3
	s_and_saveexec_b32 s14, s10
	s_cbranch_execz .LBB4_825
; %bb.824:                              ;   in Loop: Header=BB4_754 Depth=3
	ds_load_b32 v8, v0 offset:720
	s_wait_dscnt 0x0
	v_and_b32_e32 v8, 15, v8
	s_delay_alu instid0(VALU_DEP_1)
	v_cmp_eq_u32_e32 vcc_lo, 0, v8
	s_or_not1_b32 s13, vcc_lo, exec_lo
.LBB4_825:                              ;   in Loop: Header=BB4_754 Depth=3
	s_or_b32 exec_lo, exec_lo, s14
	s_and_saveexec_b32 s14, s11
	s_cbranch_execz .LBB4_827
; %bb.826:                              ;   in Loop: Header=BB4_754 Depth=3
	ds_load_b32 v8, v0 offset:784
	s_wait_dscnt 0x0
	v_and_b32_e32 v8, 15, v8
	s_delay_alu instid0(VALU_DEP_1) | instskip(SKIP_3) | instid1(SALU_CYCLE_1)
	v_cmp_eq_u32_e32 vcc_lo, 0, v8
	s_and_b32 s15, s13, vcc_lo
	s_and_not1_b32 s13, s13, exec_lo
	s_and_b32 s15, s15, exec_lo
	s_or_b32 s13, s13, s15
.LBB4_827:                              ;   in Loop: Header=BB4_754 Depth=3
	s_or_b32 exec_lo, exec_lo, s14
	s_xor_b32 s13, s13, -1
	v_dual_mov_b32 v42, 0 :: v_dual_mov_b32 v43, v15
	v_cndmask_b32_e64 v8, 0, 1, s13
	v_mov_b32_e32 v44, v0
	s_mov_b32 s13, -1
	s_delay_alu instid0(VALU_DEP_2)
	v_cmp_ne_u32_e32 vcc_lo, 0, v8
	s_cbranch_vccz .LBB4_834
; %bb.828:                              ;   in Loop: Header=BB4_754 Depth=3
	s_and_saveexec_b32 s15, s13
	s_cbranch_execnz .LBB4_847
	s_branch .LBB4_857
.LBB4_829:                              ;   in Loop: Header=BB4_754 Depth=3
	s_mov_b32 s13, 0
	s_and_saveexec_b32 s14, s2
	s_cbranch_execnz .LBB4_886
.LBB4_830:                              ;   in Loop: Header=BB4_754 Depth=3
	s_or_b32 exec_lo, exec_lo, s14
                                        ; implicit-def: $vgpr8
	s_and_saveexec_b32 s14, s12
	s_delay_alu instid0(SALU_CYCLE_1)
	s_xor_b32 s14, exec_lo, s14
	s_cbranch_execz .LBB4_904
.LBB4_831:                              ;   in Loop: Header=BB4_754 Depth=3
	v_and_b32_e32 v8, 16, v30
	s_delay_alu instid0(VALU_DEP_1) | instskip(SKIP_2) | instid1(SALU_CYCLE_1)
	v_cmp_ne_u32_e32 vcc_lo, 0, v8
	v_and_b32_e32 v8, 16, v30
	s_and_b32 s15, vcc_lo, s13
	s_and_saveexec_b32 s13, s15
	s_cbranch_execz .LBB4_833
; %bb.832:                              ;   in Loop: Header=BB4_754 Depth=3
	v_mov_b32_e32 v8, 1
	global_wb scope:SCOPE_SYS
	s_wait_storecnt 0x0
	s_wait_loadcnt_dscnt 0x0
	global_inv scope:SCOPE_SYS
.LBB4_833:                              ;   in Loop: Header=BB4_754 Depth=3
	s_or_b32 exec_lo, exec_lo, s13
	s_and_not1_saveexec_b32 s13, s14
	s_cbranch_execz .LBB4_923
	s_branch .LBB4_905
.LBB4_834:                              ;   in Loop: Header=BB4_754 Depth=3
	v_ashrrev_i32_e32 v8, 31, v15
	s_mov_b32 s13, exec_lo
	s_delay_alu instid0(VALU_DEP_1) | instskip(NEXT) | instid1(VALU_DEP_1)
	v_lshrrev_b32_e32 v8, 22, v8
	v_add_nc_u32_e32 v8, v15, v8
	s_delay_alu instid0(VALU_DEP_1) | instskip(NEXT) | instid1(VALU_DEP_1)
	v_ashrrev_i32_e32 v42, 10, v8
	v_sub_nc_u32_e32 v45, v42, v106
	s_delay_alu instid0(VALU_DEP_1)
	v_cmpx_lt_i32_e32 0, v45
	s_cbranch_execz .LBB4_838
; %bb.835:                              ;   in Loop: Header=BB4_754 Depth=3
	v_add_nc_u64_e32 v[8:9], v[18:19], v[80:81]
	v_add_nc_u64_e32 v[10:11], v[20:21], v[80:81]
	;; [unrolled: 1-line block ×3, first 2 shown]
	s_mov_b32 s14, 0
.LBB4_836:                              ;   Parent Loop BB4_47 Depth=1
                                        ;     Parent Loop BB4_751 Depth=2
                                        ;       Parent Loop BB4_754 Depth=3
                                        ; =>      This Inner Loop Header: Depth=4
	s_clause 0x1
	global_load_b128 v[56:59], v[8:9], off th:TH_LOAD_NT
	global_load_b128 v[60:63], v[8:9], off offset:512 th:TH_LOAD_NT
	v_sub_nc_u32_e32 v45, v45, v52
	s_wait_xcnt 0x0
	v_add_nc_u64_e32 v[8:9], v[8:9], v[82:83]
	s_wait_loadcnt 0x1
	global_store_b128 v[10:11], v[56:59], off th:TH_STORE_NT
	s_wait_loadcnt 0x0
	global_store_b128 v[10:11], v[60:63], off offset:512 th:TH_STORE_NT
	s_clause 0x1
	global_store_b128 v[40:41], v[56:59], off th:TH_STORE_NT
	global_store_b128 v[40:41], v[60:63], off offset:512 th:TH_STORE_NT
	v_cmp_gt_i32_e32 vcc_lo, 1, v45
	s_wait_xcnt 0x2
	v_add_nc_u64_e32 v[10:11], v[10:11], v[82:83]
	s_wait_xcnt 0x0
	v_add_nc_u64_e32 v[40:41], v[40:41], v[82:83]
	s_or_b32 s14, vcc_lo, s14
	s_delay_alu instid0(SALU_CYCLE_1)
	s_and_not1_b32 exec_lo, exec_lo, s14
	s_cbranch_execnz .LBB4_836
; %bb.837:                              ;   in Loop: Header=BB4_754 Depth=3
	s_or_b32 exec_lo, exec_lo, s14
.LBB4_838:                              ;   in Loop: Header=BB4_754 Depth=3
	s_delay_alu instid0(SALU_CYCLE_1) | instskip(SKIP_3) | instid1(VALU_DEP_1)
	s_or_b32 exec_lo, exec_lo, s13
	v_dual_lshlrev_b32 v46, 10, v42 :: v_dual_mov_b32 v42, 0
	s_mov_b32 s13, 0
	s_mov_b32 s43, exec_lo
                                        ; implicit-def: $vgpr43
                                        ; implicit-def: $vgpr44
	v_cmpx_ne_u32_e64 v15, v46
	s_cbranch_execz .LBB4_846
; %bb.839:                              ;   in Loop: Header=BB4_754 Depth=3
	v_dual_lshlrev_b32 v8, 5, v45 :: v_dual_sub_nc_u32 v10, v15, v46
	s_mov_b32 s72, exec_lo
	s_delay_alu instid0(VALU_DEP_1) | instskip(NEXT) | instid1(VALU_DEP_1)
	v_dual_sub_nc_u32 v8, v105, v8 :: v_dual_ashrrev_i32 v11, 31, v10
	v_dual_ashrrev_i32 v9, 31, v8 :: v_dual_lshrrev_b32 v11, 23, v11
	s_delay_alu instid0(VALU_DEP_1) | instskip(NEXT) | instid1(VALU_DEP_1)
	v_lshrrev_b32_e32 v9, 27, v9
	v_add_nc_u32_e32 v9, v8, v9
	s_delay_alu instid0(VALU_DEP_1) | instskip(NEXT) | instid1(VALU_DEP_1)
	v_and_b32_e32 v26, 0xffffffe0, v9
	v_dual_add_nc_u32 v11, v10, v11 :: v_dual_sub_nc_u32 v47, v8, v26
	s_delay_alu instid0(VALU_DEP_1) | instskip(SKIP_1) | instid1(VALU_DEP_2)
	v_and_b32_e32 v56, 0xfffffe00, v11
	v_dual_ashrrev_i32 v9, 5, v9 :: v_dual_ashrrev_i32 v11, 9, v11
	v_dual_lshlrev_b32 v8, 4, v47 :: v_dual_sub_nc_u32 v57, v10, v56
	s_delay_alu instid0(VALU_DEP_1) | instskip(NEXT) | instid1(VALU_DEP_2)
	v_lshl_add_u32 v8, v9, 9, v8
	v_cmp_lt_i32_e64 s13, 15, v57
	s_delay_alu instid0(VALU_DEP_1) | instskip(NEXT) | instid1(VALU_DEP_1)
	v_add_co_ci_u32_e64 v11, null, 0, v11, s13
	v_dual_sub_nc_u32 v59, v10, v8 :: v_dual_sub_nc_u32 v58, v11, v9
	s_delay_alu instid0(VALU_DEP_1)
	v_cmpx_lt_i32_e32 15, v59
	s_cbranch_execz .LBB4_845
; %bb.840:                              ;   in Loop: Header=BB4_754 Depth=3
	v_add_nc_u32_e32 v8, v8, v46
	s_mov_b32 s73, 0
	s_delay_alu instid0(VALU_DEP_1) | instskip(NEXT) | instid1(VALU_DEP_1)
	v_ashrrev_i32_e32 v9, 31, v8
	v_add_nc_u64_e32 v[40:41], v[8:9], v[18:19]
	v_add_nc_u64_e32 v[42:43], v[8:9], v[20:21]
	;; [unrolled: 1-line block ×3, first 2 shown]
.LBB4_841:                              ;   Parent Loop BB4_47 Depth=1
                                        ;     Parent Loop BB4_751 Depth=2
                                        ;       Parent Loop BB4_754 Depth=3
                                        ; =>      This Loop Header: Depth=4
                                        ;           Child Loop BB4_842 Depth 5
	global_load_b128 v[8:11], v[40:41], off th:TH_LOAD_NT
	s_mov_b64 s[16:17], 0
	s_mov_b32 s74, -1
.LBB4_842:                              ;   Parent Loop BB4_47 Depth=1
                                        ;     Parent Loop BB4_751 Depth=2
                                        ;       Parent Loop BB4_754 Depth=3
                                        ;         Parent Loop BB4_841 Depth=4
                                        ; =>        This Inner Loop Header: Depth=5
	s_cmp_eq_u32 s16, 1
	s_cselect_b32 vcc_lo, -1, 0
	s_cmp_eq_u32 s16, 0
	s_wait_xcnt 0x0
	v_dual_cndmask_b32 v27, v43, v45 :: v_dual_cndmask_b32 v26, v42, v44
	s_cselect_b32 s14, -1, 0
	s_and_b32 s15, exec_lo, s74
	s_mov_b64 s[16:17], 1
	s_mov_b32 s74, 0
	v_add_nc_u64_e32 v[60:61], 0x200, v[26:27]
	s_wait_loadcnt 0x0
	global_store_b128 v[26:27], v[8:11], off th:TH_STORE_NT
	v_dual_cndmask_b32 v45, v45, v61 :: v_dual_cndmask_b32 v44, v44, v60
	v_dual_cndmask_b32 v43, v43, v61, s14 :: v_dual_cndmask_b32 v42, v42, v60, s14
	s_mov_b32 vcc_lo, s15
	s_cbranch_vccnz .LBB4_842
; %bb.843:                              ;   in Loop: Header=BB4_841 Depth=4
	v_sub_nc_u32_e32 v59, v59, v68
	s_delay_alu instid0(VALU_DEP_2)
	v_add_nc_u64_e32 v[42:43], v[42:43], v[96:97]
	v_add_nc_u64_e32 v[44:45], v[44:45], v[96:97]
	s_wait_xcnt 0x1
	v_add_nc_u64_e32 v[40:41], v[100:101], v[40:41]
	v_sub_nc_u32_e32 v58, v58, v52
	v_cmp_gt_i32_e32 vcc_lo, 16, v59
	s_or_b32 s73, vcc_lo, s73
	s_wait_xcnt 0x0
	s_and_not1_b32 exec_lo, exec_lo, s73
	s_cbranch_execnz .LBB4_841
; %bb.844:                              ;   in Loop: Header=BB4_754 Depth=3
	s_or_b32 exec_lo, exec_lo, s73
.LBB4_845:                              ;   in Loop: Header=BB4_754 Depth=3
	s_delay_alu instid0(SALU_CYCLE_1) | instskip(NEXT) | instid1(VALU_DEP_2)
	s_or_b32 exec_lo, exec_lo, s72
	v_cmp_lt_i32_e32 vcc_lo, 0, v58
	v_dual_cndmask_b32 v10, 0, v52, vcc_lo :: v_dual_bitop2_b32 v8, 12, v15 bitop3:0x40
	s_delay_alu instid0(VALU_DEP_1) | instskip(NEXT) | instid1(VALU_DEP_1)
	v_dual_sub_nc_u32 v9, v57, v8 :: v_dual_cndmask_b32 v43, v57, v8, s13
	v_dual_cndmask_b32 v8, 0, v9, s13 :: v_dual_sub_nc_u32 v9, v10, v58
	s_delay_alu instid0(VALU_DEP_2) | instskip(NEXT) | instid1(VALU_DEP_2)
	v_cmp_ne_u32_e32 vcc_lo, 0, v43
	v_add3_u32 v42, v56, v46, v8
	s_delay_alu instid0(VALU_DEP_3)
	v_lshl_add_u32 v44, v9, 5, v47
	s_and_b32 s13, vcc_lo, exec_lo
.LBB4_846:                              ;   in Loop: Header=BB4_754 Depth=3
	s_or_b32 exec_lo, exec_lo, s43
	s_and_saveexec_b32 s15, s13
	s_cbranch_execz .LBB4_857
.LBB4_847:                              ;   in Loop: Header=BB4_754 Depth=3
	v_dual_ashrrev_i32 v8, 31, v44 :: v_dual_ashrrev_i32 v9, 31, v43
	s_mov_b32 s13, exec_lo
	s_delay_alu instid0(VALU_DEP_1) | instskip(NEXT) | instid1(VALU_DEP_1)
	v_dual_lshrrev_b32 v8, 27, v8 :: v_dual_lshrrev_b32 v9, 23, v9
	v_dual_add_nc_u32 v8, v44, v8 :: v_dual_add_nc_u32 v9, v43, v9
	s_delay_alu instid0(VALU_DEP_1) | instskip(NEXT) | instid1(VALU_DEP_1)
	v_dual_ashrrev_i32 v45, 5, v8 :: v_dual_ashrrev_i32 v47, 9, v9
	v_sub_nc_u32_e32 v46, v47, v45
	s_delay_alu instid0(VALU_DEP_1)
	v_cmpx_lt_i32_e32 0, v46
	s_cbranch_execz .LBB4_851
; %bb.848:                              ;   in Loop: Header=BB4_754 Depth=3
	v_and_b32_e32 v8, 0x3fffffe0, v8
	s_mov_b32 s14, 0
	s_delay_alu instid0(VALU_DEP_1) | instskip(NEXT) | instid1(VALU_DEP_1)
	v_dual_lshlrev_b32 v9, 9, v45 :: v_dual_sub_nc_u32 v8, v44, v8
	v_lshlrev_b32_e32 v8, 2, v8
	s_delay_alu instid0(VALU_DEP_1) | instskip(NEXT) | instid1(VALU_DEP_1)
	v_add3_u32 v26, v8, v42, v9
	v_ashrrev_i32_e32 v27, 31, v26
	s_delay_alu instid0(VALU_DEP_1)
	v_add_nc_u64_e32 v[8:9], v[26:27], v[18:19]
	v_add_nc_u64_e32 v[10:11], v[26:27], v[20:21]
	;; [unrolled: 1-line block ×3, first 2 shown]
.LBB4_849:                              ;   Parent Loop BB4_47 Depth=1
                                        ;     Parent Loop BB4_751 Depth=2
                                        ;       Parent Loop BB4_754 Depth=3
                                        ; =>      This Inner Loop Header: Depth=4
	s_clause 0x3
	flat_load_b32 v26, v[8:9] th:TH_LOAD_NT
	flat_load_b32 v27, v[8:9] offset:128 th:TH_LOAD_NT
	flat_load_b32 v56, v[8:9] offset:256 th:TH_LOAD_NT
	flat_load_b32 v57, v[8:9] offset:384 th:TH_LOAD_NT
	v_sub_nc_u32_e32 v46, v46, v52
	s_wait_xcnt 0x0
	v_add_nc_u64_e32 v[8:9], v[8:9], v[68:69]
	s_wait_loadcnt_dscnt 0x303
	flat_store_b32 v[10:11], v26 th:TH_STORE_NT
	s_wait_loadcnt_dscnt 0x203
	flat_store_b32 v[10:11], v27 offset:128 th:TH_STORE_NT
	s_wait_loadcnt_dscnt 0x103
	flat_store_b32 v[10:11], v56 offset:256 th:TH_STORE_NT
	;; [unrolled: 2-line block ×3, first 2 shown]
	s_clause 0x3
	flat_store_b32 v[40:41], v26 th:TH_STORE_NT
	flat_store_b32 v[40:41], v27 offset:128 th:TH_STORE_NT
	flat_store_b32 v[40:41], v56 offset:256 th:TH_STORE_NT
	flat_store_b32 v[40:41], v57 offset:384 th:TH_STORE_NT
	v_cmp_gt_i32_e32 vcc_lo, 1, v46
	s_wait_xcnt 0x4
	v_add_nc_u64_e32 v[10:11], v[10:11], v[68:69]
	s_wait_xcnt 0x0
	v_add_nc_u64_e32 v[40:41], v[40:41], v[68:69]
	s_or_b32 s14, vcc_lo, s14
	s_delay_alu instid0(SALU_CYCLE_1)
	s_and_not1_b32 exec_lo, exec_lo, s14
	s_cbranch_execnz .LBB4_849
; %bb.850:                              ;   in Loop: Header=BB4_754 Depth=3
	s_or_b32 exec_lo, exec_lo, s14
.LBB4_851:                              ;   in Loop: Header=BB4_754 Depth=3
	s_delay_alu instid0(SALU_CYCLE_1) | instskip(SKIP_1) | instid1(VALU_DEP_1)
	s_or_b32 exec_lo, exec_lo, s13
	v_lshlrev_b32_e32 v8, 9, v47
	v_cmp_ne_u32_e32 vcc_lo, v43, v8
	s_and_b32 exec_lo, exec_lo, vcc_lo
	s_cbranch_execz .LBB4_857
; %bb.852:                              ;   in Loop: Header=BB4_754 Depth=3
	v_dual_lshlrev_b32 v9, 5, v45 :: v_dual_lshlrev_b32 v10, 5, v46
	s_delay_alu instid0(VALU_DEP_1) | instskip(NEXT) | instid1(VALU_DEP_1)
	v_sub_nc_u32_e32 v9, v44, v9
	v_sub_nc_u32_e32 v9, v9, v10
	s_delay_alu instid0(VALU_DEP_1) | instskip(NEXT) | instid1(VALU_DEP_1)
	v_ashrrev_i32_e32 v10, 31, v9
	v_lshrrev_b32_e32 v10, 27, v10
	s_delay_alu instid0(VALU_DEP_1) | instskip(NEXT) | instid1(VALU_DEP_1)
	v_add_nc_u32_e32 v10, v9, v10
	v_and_b32_e32 v11, 0x3fffffe0, v10
	s_delay_alu instid0(VALU_DEP_1) | instskip(NEXT) | instid1(VALU_DEP_1)
	v_dual_lshlrev_b32 v10, 2, v10 :: v_dual_sub_nc_u32 v9, v9, v11
	v_and_b32_e32 v10, 0xffffff80, v10
	s_delay_alu instid0(VALU_DEP_2) | instskip(NEXT) | instid1(VALU_DEP_1)
	v_lshlrev_b32_e32 v9, 2, v9
	v_add3_u32 v8, v10, v9, v8
	s_delay_alu instid0(VALU_DEP_1) | instskip(NEXT) | instid1(VALU_DEP_1)
	v_sub_nc_u32_e32 v40, v43, v8
	v_cmp_lt_i32_e32 vcc_lo, 3, v40
	s_and_b32 exec_lo, exec_lo, vcc_lo
	s_cbranch_execz .LBB4_857
; %bb.853:                              ;   in Loop: Header=BB4_754 Depth=3
	v_add_nc_u32_e32 v26, v8, v42
	s_mov_b32 s43, 0
	s_delay_alu instid0(VALU_DEP_1) | instskip(NEXT) | instid1(VALU_DEP_1)
	v_ashrrev_i32_e32 v27, 31, v26
	v_add_nc_u64_e32 v[8:9], v[26:27], v[18:19]
	v_add_nc_u64_e32 v[10:11], v[26:27], v[20:21]
	;; [unrolled: 1-line block ×3, first 2 shown]
.LBB4_854:                              ;   Parent Loop BB4_47 Depth=1
                                        ;     Parent Loop BB4_751 Depth=2
                                        ;       Parent Loop BB4_754 Depth=3
                                        ; =>      This Loop Header: Depth=4
                                        ;           Child Loop BB4_855 Depth 5
	flat_load_b32 v41, v[8:9] th:TH_LOAD_NT
	s_mov_b64 s[16:17], 0
	s_mov_b32 s72, -1
.LBB4_855:                              ;   Parent Loop BB4_47 Depth=1
                                        ;     Parent Loop BB4_751 Depth=2
                                        ;       Parent Loop BB4_754 Depth=3
                                        ;         Parent Loop BB4_854 Depth=4
                                        ; =>        This Inner Loop Header: Depth=5
	s_cmp_eq_u32 s16, 1
	s_cselect_b32 vcc_lo, -1, 0
	s_cmp_eq_u32 s16, 0
	s_wait_xcnt 0x0
	v_dual_cndmask_b32 v27, v11, v23 :: v_dual_cndmask_b32 v26, v10, v22
	s_cselect_b32 s13, -1, 0
	s_and_b32 s14, exec_lo, s72
	s_mov_b64 s[16:17], 1
	s_mov_b32 s72, 0
	v_add_nc_u64_e32 v[42:43], 0x80, v[26:27]
	s_wait_loadcnt_dscnt 0x0
	flat_store_b32 v[26:27], v41 th:TH_STORE_NT
	v_dual_cndmask_b32 v23, v23, v43 :: v_dual_cndmask_b32 v22, v22, v42
	v_dual_cndmask_b32 v11, v11, v43, s13 :: v_dual_cndmask_b32 v10, v10, v42, s13
	s_mov_b32 vcc_lo, s14
	s_cbranch_vccnz .LBB4_855
; %bb.856:                              ;   in Loop: Header=BB4_854 Depth=4
	v_sub_nc_u32_e32 v40, v40, v70
	s_delay_alu instid0(VALU_DEP_2)
	v_add_nc_u64_e32 v[10:11], v[10:11], v[98:99]
	v_add_nc_u64_e32 v[22:23], v[22:23], v[98:99]
	s_wait_xcnt 0x1
	v_add_nc_u64_e32 v[8:9], v[102:103], v[8:9]
	v_cmp_gt_i32_e32 vcc_lo, 4, v40
	s_or_b32 s43, vcc_lo, s43
	s_wait_xcnt 0x0
	s_and_not1_b32 exec_lo, exec_lo, s43
	s_cbranch_execnz .LBB4_854
.LBB4_857:                              ;   in Loop: Header=BB4_754 Depth=3
	s_or_b32 exec_lo, exec_lo, s15
	s_mov_b32 s13, 0
.LBB4_858:                              ;   in Loop: Header=BB4_754 Depth=3
	s_delay_alu instid0(SALU_CYCLE_1)
	s_and_b32 vcc_lo, exec_lo, s13
	s_cbranch_vccz .LBB4_885
; %bb.859:                              ;   in Loop: Header=BB4_754 Depth=3
	s_mov_b32 s13, -1
	s_and_saveexec_b32 s14, s10
	s_cbranch_execz .LBB4_861
; %bb.860:                              ;   in Loop: Header=BB4_754 Depth=3
	ds_load_b32 v8, v0 offset:720
	s_wait_dscnt 0x0
	v_and_b32_e32 v8, 15, v8
	s_delay_alu instid0(VALU_DEP_1)
	v_cmp_eq_u32_e32 vcc_lo, 0, v8
	s_or_not1_b32 s13, vcc_lo, exec_lo
.LBB4_861:                              ;   in Loop: Header=BB4_754 Depth=3
	s_or_b32 exec_lo, exec_lo, s14
	s_and_saveexec_b32 s14, s7
	s_cbranch_execz .LBB4_863
; %bb.862:                              ;   in Loop: Header=BB4_754 Depth=3
	ds_load_b32 v8, v0 offset:784
	s_wait_dscnt 0x0
	v_and_b32_e32 v8, 15, v8
	s_delay_alu instid0(VALU_DEP_1) | instskip(SKIP_3) | instid1(SALU_CYCLE_1)
	v_cmp_eq_u32_e32 vcc_lo, 0, v8
	s_and_b32 s15, s13, vcc_lo
	s_and_not1_b32 s13, s13, exec_lo
	s_and_b32 s15, s15, exec_lo
	s_or_b32 s13, s13, s15
.LBB4_863:                              ;   in Loop: Header=BB4_754 Depth=3
	s_or_b32 exec_lo, exec_lo, s14
	s_xor_b32 s13, s13, -1
	v_mov_b32_e32 v40, 0
	v_cndmask_b32_e64 v8, 0, 1, s13
	s_mov_b32 s15, -1
	s_delay_alu instid0(VALU_DEP_1)
	v_cmp_ne_u32_e32 vcc_lo, 0, v8
	s_cbranch_vccz .LBB4_865
; %bb.864:                              ;   in Loop: Header=BB4_754 Depth=3
	v_mov_b32_e32 v41, v0
	s_and_saveexec_b32 s13, s15
	s_cbranch_execnz .LBB4_876
	s_branch .LBB4_884
.LBB4_865:                              ;   in Loop: Header=BB4_754 Depth=3
	v_ashrrev_i32_e32 v8, 31, v15
	s_mov_b32 s13, exec_lo
	s_delay_alu instid0(VALU_DEP_1) | instskip(NEXT) | instid1(VALU_DEP_1)
	v_lshrrev_b32_e32 v8, 21, v8
	v_add_nc_u32_e32 v8, v15, v8
	s_delay_alu instid0(VALU_DEP_1) | instskip(NEXT) | instid1(VALU_DEP_1)
	v_ashrrev_i32_e32 v23, 11, v8
	v_sub_nc_u32_e32 v22, v23, v106
	s_delay_alu instid0(VALU_DEP_1)
	v_cmpx_lt_i32_e32 0, v22
	s_cbranch_execz .LBB4_869
; %bb.866:                              ;   in Loop: Header=BB4_754 Depth=3
	v_mov_b64_e32 v[8:9], v[20:21]
	v_mov_b64_e32 v[10:11], v[18:19]
	s_mov_b32 s14, 0
.LBB4_867:                              ;   Parent Loop BB4_47 Depth=1
                                        ;     Parent Loop BB4_751 Depth=2
                                        ;       Parent Loop BB4_754 Depth=3
                                        ; =>      This Inner Loop Header: Depth=4
	s_delay_alu instid0(VALU_DEP_1)
	v_add_nc_u64_e32 v[26:27], v[84:85], v[10:11]
	v_sub_nc_u32_e32 v22, v22, v52
	v_add_nc_u64_e32 v[10:11], v[10:11], v[66:67]
	s_clause 0x3
	global_load_b128 v[40:43], v[26:27], off th:TH_LOAD_NT
	global_load_b128 v[44:47], v[26:27], off offset:512 th:TH_LOAD_NT
	global_load_b128 v[56:59], v[26:27], off offset:1024 th:TH_LOAD_NT
	;; [unrolled: 1-line block ×3, first 2 shown]
	s_wait_xcnt 0x0
	v_add_nc_u64_e32 v[26:27], v[84:85], v[8:9]
	v_cmp_gt_i32_e32 vcc_lo, 1, v22
	v_add_nc_u64_e32 v[8:9], v[8:9], v[66:67]
	s_wait_loadcnt 0x3
	global_store_b128 v[26:27], v[40:43], off th:TH_STORE_NT
	s_wait_loadcnt 0x2
	global_store_b128 v[26:27], v[44:47], off offset:512 th:TH_STORE_NT
	s_wait_loadcnt 0x1
	global_store_b128 v[26:27], v[56:59], off offset:1024 th:TH_STORE_NT
	;; [unrolled: 2-line block ×3, first 2 shown]
	s_or_b32 s14, vcc_lo, s14
	s_wait_xcnt 0x0
	s_and_not1_b32 exec_lo, exec_lo, s14
	s_cbranch_execnz .LBB4_867
; %bb.868:                              ;   in Loop: Header=BB4_754 Depth=3
	s_or_b32 exec_lo, exec_lo, s14
.LBB4_869:                              ;   in Loop: Header=BB4_754 Depth=3
	s_delay_alu instid0(SALU_CYCLE_1) | instskip(SKIP_3) | instid1(VALU_DEP_1)
	s_or_b32 exec_lo, exec_lo, s13
	v_dual_lshlrev_b32 v10, 11, v23 :: v_dual_mov_b32 v40, 0
	s_mov_b32 s15, 0
	s_mov_b32 s14, exec_lo
                                        ; implicit-def: $vgpr41
	v_cmpx_ne_u32_e64 v15, v10
	s_cbranch_execz .LBB4_875
; %bb.870:                              ;   in Loop: Header=BB4_754 Depth=3
	v_lshlrev_b32_e32 v8, 5, v22
	s_mov_b32 s15, exec_lo
	s_delay_alu instid0(VALU_DEP_1) | instskip(NEXT) | instid1(VALU_DEP_1)
	v_dual_sub_nc_u32 v26, v15, v10 :: v_dual_sub_nc_u32 v8, v105, v8
	v_dual_ashrrev_i32 v11, 31, v26 :: v_dual_ashrrev_i32 v9, 31, v8
	s_delay_alu instid0(VALU_DEP_1) | instskip(NEXT) | instid1(VALU_DEP_1)
	v_dual_lshrrev_b32 v11, 23, v11 :: v_dual_lshrrev_b32 v9, 27, v9
	v_add_nc_u32_e32 v9, v8, v9
	s_delay_alu instid0(VALU_DEP_1) | instskip(NEXT) | instid1(VALU_DEP_1)
	v_and_b32_e32 v22, 0xffffffe0, v9
	v_dual_add_nc_u32 v27, v26, v11 :: v_dual_sub_nc_u32 v11, v8, v22
	s_delay_alu instid0(VALU_DEP_1) | instskip(SKIP_1) | instid1(VALU_DEP_2)
	v_and_b32_e32 v22, 0xfffffe00, v27
	v_dual_ashrrev_i32 v9, 5, v9 :: v_dual_ashrrev_i32 v27, 9, v27
	v_dual_lshlrev_b32 v8, 4, v11 :: v_dual_sub_nc_u32 v23, v26, v22
	s_delay_alu instid0(VALU_DEP_1) | instskip(NEXT) | instid1(VALU_DEP_2)
	v_lshl_add_u32 v8, v9, 9, v8
	v_cmp_lt_i32_e32 vcc_lo, 15, v23
	s_delay_alu instid0(VALU_DEP_4) | instskip(NEXT) | instid1(VALU_DEP_1)
	v_add_co_ci_u32_e64 v27, null, 0, v27, vcc_lo
	v_dual_sub_nc_u32 v41, v26, v8 :: v_dual_sub_nc_u32 v40, v27, v9
	s_delay_alu instid0(VALU_DEP_1)
	v_cmpx_lt_i32_e32 15, v41
	s_cbranch_execz .LBB4_874
; %bb.871:                              ;   in Loop: Header=BB4_754 Depth=3
	v_add_nc_u32_e32 v8, v8, v10
	s_mov_b32 s16, 0
	s_delay_alu instid0(VALU_DEP_1)
	v_ashrrev_i32_e32 v9, 31, v8
.LBB4_872:                              ;   Parent Loop BB4_47 Depth=1
                                        ;     Parent Loop BB4_751 Depth=2
                                        ;       Parent Loop BB4_754 Depth=3
                                        ; =>      This Inner Loop Header: Depth=4
	s_delay_alu instid0(VALU_DEP_1) | instskip(SKIP_2) | instid1(VALU_DEP_2)
	v_add_nc_u64_e32 v[26:27], v[18:19], v[8:9]
	v_sub_nc_u32_e32 v41, v41, v68
	v_sub_nc_u32_e32 v40, v40, v52
	v_cmp_gt_i32_e64 s13, 16, v41
	global_load_b128 v[42:45], v[26:27], off th:TH_LOAD_NT
	s_wait_xcnt 0x0
	v_add_nc_u64_e32 v[26:27], v[20:21], v[8:9]
	v_add_nc_u64_e32 v[8:9], v[8:9], v[68:69]
	s_or_b32 s16, s13, s16
	s_wait_loadcnt 0x0
	global_store_b128 v[26:27], v[42:45], off th:TH_STORE_NT
	s_wait_xcnt 0x0
	s_and_not1_b32 exec_lo, exec_lo, s16
	s_cbranch_execnz .LBB4_872
; %bb.873:                              ;   in Loop: Header=BB4_754 Depth=3
	s_or_b32 exec_lo, exec_lo, s16
.LBB4_874:                              ;   in Loop: Header=BB4_754 Depth=3
	s_delay_alu instid0(SALU_CYCLE_1) | instskip(NEXT) | instid1(VALU_DEP_2)
	s_or_b32 exec_lo, exec_lo, s15
	v_cmp_lt_i32_e64 s13, 0, v40
	s_delay_alu instid0(VALU_DEP_1) | instskip(NEXT) | instid1(VALU_DEP_1)
	v_dual_cndmask_b32 v26, 0, v52, s13 :: v_dual_bitop2_b32 v8, 12, v15 bitop3:0x40
	v_dual_sub_nc_u32 v9, v23, v8 :: v_dual_cndmask_b32 v15, v23, v8, vcc_lo
	s_delay_alu instid0(VALU_DEP_1) | instskip(NEXT) | instid1(VALU_DEP_2)
	v_dual_cndmask_b32 v8, 0, v9 :: v_dual_sub_nc_u32 v9, v26, v40
	v_cmp_ne_u32_e32 vcc_lo, 0, v15
	s_delay_alu instid0(VALU_DEP_2) | instskip(NEXT) | instid1(VALU_DEP_3)
	v_add3_u32 v40, v22, v10, v8
	v_lshl_add_u32 v41, v9, 5, v11
	s_and_b32 s15, vcc_lo, exec_lo
.LBB4_875:                              ;   in Loop: Header=BB4_754 Depth=3
	s_or_b32 exec_lo, exec_lo, s14
	s_and_saveexec_b32 s13, s15
	s_cbranch_execz .LBB4_884
.LBB4_876:                              ;   in Loop: Header=BB4_754 Depth=3
	s_delay_alu instid0(VALU_DEP_1) | instskip(SKIP_1) | instid1(VALU_DEP_1)
	v_dual_ashrrev_i32 v8, 31, v41 :: v_dual_ashrrev_i32 v9, 31, v15
	s_mov_b32 s14, exec_lo
	v_dual_lshrrev_b32 v8, 27, v8 :: v_dual_lshrrev_b32 v9, 23, v9
	s_delay_alu instid0(VALU_DEP_1) | instskip(NEXT) | instid1(VALU_DEP_1)
	v_dual_add_nc_u32 v8, v41, v8 :: v_dual_add_nc_u32 v9, v15, v9
	v_dual_ashrrev_i32 v42, 5, v8 :: v_dual_ashrrev_i32 v44, 9, v9
	s_delay_alu instid0(VALU_DEP_1) | instskip(NEXT) | instid1(VALU_DEP_1)
	v_sub_nc_u32_e32 v43, v44, v42
	v_cmpx_lt_i32_e32 0, v43
	s_cbranch_execz .LBB4_880
; %bb.877:                              ;   in Loop: Header=BB4_754 Depth=3
	v_and_b32_e32 v8, 0x3fffffe0, v8
	v_mov_b64_e32 v[10:11], v[20:21]
	v_mov_b64_e32 v[22:23], v[18:19]
	s_mov_b32 s15, 0
	s_delay_alu instid0(VALU_DEP_3) | instskip(NEXT) | instid1(VALU_DEP_1)
	v_dual_lshlrev_b32 v9, 9, v42 :: v_dual_sub_nc_u32 v8, v41, v8
	v_lshlrev_b32_e32 v8, 2, v8
	s_delay_alu instid0(VALU_DEP_1) | instskip(NEXT) | instid1(VALU_DEP_1)
	v_add3_u32 v8, v8, v40, v9
	v_ashrrev_i32_e32 v9, 31, v8
.LBB4_878:                              ;   Parent Loop BB4_47 Depth=1
                                        ;     Parent Loop BB4_751 Depth=2
                                        ;       Parent Loop BB4_754 Depth=3
                                        ; =>      This Inner Loop Header: Depth=4
	s_delay_alu instid0(VALU_DEP_1)
	v_add_nc_u64_e32 v[26:27], v[8:9], v[22:23]
	v_sub_nc_u32_e32 v43, v43, v52
	v_add_nc_u64_e32 v[22:23], v[22:23], v[68:69]
	s_clause 0x3
	flat_load_b32 v45, v[26:27] th:TH_LOAD_NT
	flat_load_b32 v46, v[26:27] offset:128 th:TH_LOAD_NT
	flat_load_b32 v47, v[26:27] offset:256 th:TH_LOAD_NT
	;; [unrolled: 1-line block ×3, first 2 shown]
	s_wait_xcnt 0x0
	v_add_nc_u64_e32 v[26:27], v[8:9], v[10:11]
	v_cmp_gt_i32_e32 vcc_lo, 1, v43
	v_add_nc_u64_e32 v[10:11], v[10:11], v[68:69]
	s_wait_loadcnt_dscnt 0x303
	flat_store_b32 v[26:27], v45 th:TH_STORE_NT
	s_wait_loadcnt_dscnt 0x203
	flat_store_b32 v[26:27], v46 offset:128 th:TH_STORE_NT
	s_wait_loadcnt_dscnt 0x103
	flat_store_b32 v[26:27], v47 offset:256 th:TH_STORE_NT
	;; [unrolled: 2-line block ×3, first 2 shown]
	s_or_b32 s15, vcc_lo, s15
	s_wait_xcnt 0x0
	s_and_not1_b32 exec_lo, exec_lo, s15
	s_cbranch_execnz .LBB4_878
; %bb.879:                              ;   in Loop: Header=BB4_754 Depth=3
	s_or_b32 exec_lo, exec_lo, s15
.LBB4_880:                              ;   in Loop: Header=BB4_754 Depth=3
	s_delay_alu instid0(SALU_CYCLE_1) | instskip(SKIP_1) | instid1(VALU_DEP_1)
	s_or_b32 exec_lo, exec_lo, s14
	v_lshlrev_b32_e32 v8, 9, v44
	v_cmp_ne_u32_e32 vcc_lo, v15, v8
	s_and_b32 exec_lo, exec_lo, vcc_lo
	s_cbranch_execz .LBB4_884
; %bb.881:                              ;   in Loop: Header=BB4_754 Depth=3
	v_dual_lshlrev_b32 v9, 5, v42 :: v_dual_lshlrev_b32 v10, 5, v43
	s_delay_alu instid0(VALU_DEP_1) | instskip(NEXT) | instid1(VALU_DEP_1)
	v_sub_nc_u32_e32 v9, v41, v9
	v_sub_nc_u32_e32 v9, v9, v10
	s_delay_alu instid0(VALU_DEP_1) | instskip(NEXT) | instid1(VALU_DEP_1)
	v_ashrrev_i32_e32 v10, 31, v9
	v_lshrrev_b32_e32 v10, 27, v10
	s_delay_alu instid0(VALU_DEP_1) | instskip(NEXT) | instid1(VALU_DEP_1)
	v_add_nc_u32_e32 v10, v9, v10
	v_and_b32_e32 v11, 0x3fffffe0, v10
	s_delay_alu instid0(VALU_DEP_1) | instskip(NEXT) | instid1(VALU_DEP_1)
	v_dual_lshlrev_b32 v10, 2, v10 :: v_dual_sub_nc_u32 v9, v9, v11
	v_and_b32_e32 v10, 0xffffff80, v10
	s_delay_alu instid0(VALU_DEP_2) | instskip(NEXT) | instid1(VALU_DEP_1)
	v_lshlrev_b32_e32 v9, 2, v9
	v_add3_u32 v8, v10, v9, v8
	s_delay_alu instid0(VALU_DEP_1) | instskip(NEXT) | instid1(VALU_DEP_1)
	v_sub_nc_u32_e32 v10, v15, v8
	v_cmp_lt_i32_e32 vcc_lo, 3, v10
	s_and_b32 exec_lo, exec_lo, vcc_lo
	s_cbranch_execz .LBB4_884
; %bb.882:                              ;   in Loop: Header=BB4_754 Depth=3
	v_add_nc_u32_e32 v8, v8, v40
	s_mov_b32 s14, 0
	s_delay_alu instid0(VALU_DEP_1)
	v_ashrrev_i32_e32 v9, 31, v8
.LBB4_883:                              ;   Parent Loop BB4_47 Depth=1
                                        ;     Parent Loop BB4_751 Depth=2
                                        ;       Parent Loop BB4_754 Depth=3
                                        ; =>      This Inner Loop Header: Depth=4
	s_delay_alu instid0(VALU_DEP_1) | instskip(SKIP_1) | instid1(VALU_DEP_1)
	v_add_nc_u64_e32 v[22:23], v[18:19], v[8:9]
	v_sub_nc_u32_e32 v10, v10, v70
	v_cmp_gt_i32_e32 vcc_lo, 4, v10
	flat_load_b32 v11, v[22:23] th:TH_LOAD_NT
	s_wait_xcnt 0x0
	v_add_nc_u64_e32 v[22:23], v[20:21], v[8:9]
	v_add_nc_u64_e32 v[8:9], v[8:9], v[70:71]
	s_or_b32 s14, vcc_lo, s14
	s_wait_loadcnt_dscnt 0x0
	flat_store_b32 v[22:23], v11 th:TH_STORE_NT
	s_wait_xcnt 0x0
	s_and_not1_b32 exec_lo, exec_lo, s14
	s_cbranch_execnz .LBB4_883
.LBB4_884:                              ;   in Loop: Header=BB4_754 Depth=3
	s_or_b32 exec_lo, exec_lo, s13
.LBB4_885:                              ;   in Loop: Header=BB4_754 Depth=3
	v_cmp_lt_i32_e64 s13, 0, v13
	s_and_saveexec_b32 s14, s2
	s_cbranch_execz .LBB4_830
.LBB4_886:                              ;   in Loop: Header=BB4_754 Depth=3
	s_and_saveexec_b32 s15, s3
	s_delay_alu instid0(SALU_CYCLE_1)
	s_xor_b32 s15, exec_lo, s15
	s_cbranch_execz .LBB4_901
; %bb.887:                              ;   in Loop: Header=BB4_754 Depth=3
	s_and_saveexec_b32 s16, s6
	s_cbranch_execz .LBB4_900
; %bb.888:                              ;   in Loop: Header=BB4_754 Depth=3
	s_mov_b32 s43, exec_lo
	s_mov_b32 s17, exec_lo
	v_mbcnt_lo_u32_b32 v8, s43, 0
	global_wb scope:SCOPE_DEV
	s_wait_storecnt 0x0
	s_wait_loadcnt_dscnt 0x0
	global_inv scope:SCOPE_DEV
	v_cmpx_eq_u32_e32 0, v8
	s_cbranch_execz .LBB4_890
; %bb.889:                              ;   in Loop: Header=BB4_754 Depth=3
	s_bcnt1_i32_b32 s43, s43
	s_delay_alu instid0(SALU_CYCLE_1)
	v_dual_mov_b32 v9, v2 :: v_dual_mov_b32 v8, s43
	s_wait_loadcnt 0x0
	ds_add_u64 v0, v[8:9]
	s_trap 2
.LBB4_890:                              ;   in Loop: Header=BB4_754 Depth=3
	s_or_b32 exec_lo, exec_lo, s17
	s_trap 2
	ds_load_b64 v[8:9], v0
	s_wait_dscnt 0x0
	v_add_nc_u64_e32 v[48:49], v[48:49], v[52:53]
	s_mov_b32 s17, exec_lo
	s_delay_alu instid0(VALU_DEP_1)
	v_cmpx_lt_u64_e64 v[8:9], v[48:49]
	s_cbranch_execz .LBB4_899
; %bb.891:                              ;   in Loop: Header=BB4_754 Depth=3
	s_mov_b32 s43, 0
	s_mov_b32 s74, 0
                                        ; implicit-def: $sgpr72
                                        ; implicit-def: $sgpr73
	s_branch .LBB4_893
.LBB4_892:                              ;   in Loop: Header=BB4_893 Depth=4
	s_or_b32 exec_lo, exec_lo, s76
	s_delay_alu instid0(SALU_CYCLE_1) | instskip(NEXT) | instid1(SALU_CYCLE_1)
	s_and_b32 s75, exec_lo, s77
	s_or_b32 s43, s75, s43
	s_and_not1_b32 s72, s72, exec_lo
	s_and_b32 s75, s73, exec_lo
	s_delay_alu instid0(SALU_CYCLE_1)
	s_or_b32 s72, s72, s75
	s_and_not1_b32 exec_lo, exec_lo, s43
	s_cbranch_execz .LBB4_897
.LBB4_893:                              ;   Parent Loop BB4_47 Depth=1
                                        ;     Parent Loop BB4_751 Depth=2
                                        ;       Parent Loop BB4_754 Depth=3
                                        ; =>      This Inner Loop Header: Depth=4
	s_add_co_i32 s74, s74, 1
	s_delay_alu instid0(SALU_CYCLE_1) | instskip(SKIP_1) | instid1(SALU_CYCLE_1)
	s_cmp_lg_u32 s74, 0x2710
	s_cselect_b32 s75, -1, 0
	s_and_b32 vcc_lo, exec_lo, s75
	s_cbranch_vccz .LBB4_895
; %bb.894:                              ;   in Loop: Header=BB4_893 Depth=4
	s_mov_b32 s77, -1
	s_or_b32 s73, s73, exec_lo
	s_and_saveexec_b32 s76, s75
	s_cbranch_execz .LBB4_892
	s_branch .LBB4_896
.LBB4_895:                              ;   in Loop: Header=BB4_893 Depth=4
	s_trap 2
	ds_load_b64 v[8:9], v0
	s_and_not1_b32 s75, s75, exec_lo
	s_mov_b32 s74, 0
	s_wait_loadcnt_dscnt 0x0
	flat_load_b32 v8, v[8:9] scope:SCOPE_SYS
	s_wait_loadcnt_dscnt 0x0
	global_inv scope:SCOPE_SYS
	v_cmp_eq_u32_e32 vcc_lo, 0, v8
	s_and_b32 s76, vcc_lo, exec_lo
	s_delay_alu instid0(SALU_CYCLE_1)
	s_or_b32 s75, s75, s76
	s_mov_b32 s77, -1
	s_or_b32 s73, s73, exec_lo
	s_and_saveexec_b32 s76, s75
	s_cbranch_execz .LBB4_892
.LBB4_896:                              ;   in Loop: Header=BB4_893 Depth=4
	s_sleep 1
	s_trap 2
	ds_load_b64 v[8:9], v0
	s_wait_dscnt 0x0
	s_and_not1_b32 s73, s73, exec_lo
	v_cmp_ge_u64_e32 vcc_lo, v[8:9], v[48:49]
	s_or_not1_b32 s77, vcc_lo, exec_lo
	s_branch .LBB4_892
.LBB4_897:                              ;   in Loop: Header=BB4_754 Depth=3
	s_or_b32 exec_lo, exec_lo, s43
	s_and_saveexec_b32 s43, s72
	s_delay_alu instid0(SALU_CYCLE_1)
	s_xor_b32 s43, exec_lo, s43
	s_cbranch_execz .LBB4_899
; %bb.898:                              ;   in Loop: Header=BB4_754 Depth=3
	ds_store_b32 v0, v107
	s_trap 2
.LBB4_899:                              ;   in Loop: Header=BB4_754 Depth=3
	s_or_b32 exec_lo, exec_lo, s17
	;;#ASMSTART
	s_wakeup
	;;#ASMEND
.LBB4_900:                              ;   in Loop: Header=BB4_754 Depth=3
	s_or_b32 exec_lo, exec_lo, s16
.LBB4_901:                              ;   in Loop: Header=BB4_754 Depth=3
	s_and_not1_saveexec_b32 s15, s15
	s_cbranch_execz .LBB4_903
; %bb.902:                              ;   in Loop: Header=BB4_754 Depth=3
	global_wb scope:SCOPE_DEV
	s_wait_storecnt 0x0
	s_wait_loadcnt_dscnt 0x0
	global_inv scope:SCOPE_DEV
	s_barrier_signal -1
	s_barrier_wait -1
.LBB4_903:                              ;   in Loop: Header=BB4_754 Depth=3
	s_or_b32 exec_lo, exec_lo, s15
	s_delay_alu instid0(SALU_CYCLE_1) | instskip(SKIP_1) | instid1(SALU_CYCLE_1)
	s_or_b32 exec_lo, exec_lo, s14
                                        ; implicit-def: $vgpr8
	s_and_saveexec_b32 s14, s12
	s_xor_b32 s14, exec_lo, s14
	s_cbranch_execnz .LBB4_831
.LBB4_904:                              ;   in Loop: Header=BB4_754 Depth=3
	s_and_not1_saveexec_b32 s13, s14
	s_cbranch_execz .LBB4_923
.LBB4_905:                              ;   in Loop: Header=BB4_754 Depth=3
	s_and_saveexec_b32 s14, s3
	s_delay_alu instid0(SALU_CYCLE_1)
	s_xor_b32 s14, exec_lo, s14
	s_cbranch_execz .LBB4_920
; %bb.906:                              ;   in Loop: Header=BB4_754 Depth=3
	s_and_saveexec_b32 s15, s6
	s_cbranch_execz .LBB4_919
; %bb.907:                              ;   in Loop: Header=BB4_754 Depth=3
	s_mov_b32 s17, exec_lo
	s_mov_b32 s16, exec_lo
	v_mbcnt_lo_u32_b32 v8, s17, 0
	;;#ASMSTART
	s_waitcnt lgkmcnt(0) vmcnt(0)
	;;#ASMEND
	s_delay_alu instid0(VALU_DEP_1)
	v_cmpx_eq_u32_e32 0, v8
	s_cbranch_execz .LBB4_909
; %bb.908:                              ;   in Loop: Header=BB4_754 Depth=3
	s_bcnt1_i32_b32 s17, s17
	s_delay_alu instid0(SALU_CYCLE_1)
	v_dual_mov_b32 v9, v2 :: v_dual_mov_b32 v8, s17
	s_wait_storecnt 0x0
	s_wait_loadcnt_dscnt 0x0
	ds_add_u64 v0, v[8:9]
	s_trap 2
.LBB4_909:                              ;   in Loop: Header=BB4_754 Depth=3
	s_or_b32 exec_lo, exec_lo, s16
	s_trap 2
	ds_load_b64 v[8:9], v0
	s_wait_dscnt 0x0
	v_add_nc_u64_e32 v[48:49], v[48:49], v[52:53]
	s_mov_b32 s16, exec_lo
	s_delay_alu instid0(VALU_DEP_1)
	v_cmpx_lt_u64_e64 v[8:9], v[48:49]
	s_cbranch_execz .LBB4_918
; %bb.910:                              ;   in Loop: Header=BB4_754 Depth=3
	s_mov_b32 s17, 0
	s_mov_b32 s73, 0
                                        ; implicit-def: $sgpr43
                                        ; implicit-def: $sgpr72
	s_branch .LBB4_912
.LBB4_911:                              ;   in Loop: Header=BB4_912 Depth=4
	s_or_b32 exec_lo, exec_lo, s75
	s_delay_alu instid0(SALU_CYCLE_1) | instskip(NEXT) | instid1(SALU_CYCLE_1)
	s_and_b32 s74, exec_lo, s76
	s_or_b32 s17, s74, s17
	s_and_not1_b32 s43, s43, exec_lo
	s_and_b32 s74, s72, exec_lo
	s_delay_alu instid0(SALU_CYCLE_1)
	s_or_b32 s43, s43, s74
	s_and_not1_b32 exec_lo, exec_lo, s17
	s_cbranch_execz .LBB4_916
.LBB4_912:                              ;   Parent Loop BB4_47 Depth=1
                                        ;     Parent Loop BB4_751 Depth=2
                                        ;       Parent Loop BB4_754 Depth=3
                                        ; =>      This Inner Loop Header: Depth=4
	s_add_co_i32 s73, s73, 1
	s_delay_alu instid0(SALU_CYCLE_1) | instskip(SKIP_1) | instid1(SALU_CYCLE_1)
	s_cmp_lg_u32 s73, 0x2710
	s_cselect_b32 s74, -1, 0
	s_and_b32 vcc_lo, exec_lo, s74
	s_cbranch_vccz .LBB4_914
; %bb.913:                              ;   in Loop: Header=BB4_912 Depth=4
	s_mov_b32 s76, -1
	s_or_b32 s72, s72, exec_lo
	s_and_saveexec_b32 s75, s74
	s_cbranch_execz .LBB4_911
	s_branch .LBB4_915
.LBB4_914:                              ;   in Loop: Header=BB4_912 Depth=4
	s_trap 2
	ds_load_b64 v[8:9], v0
	s_and_not1_b32 s74, s74, exec_lo
	s_mov_b32 s73, 0
	s_wait_storecnt 0x0
	s_wait_loadcnt_dscnt 0x0
	flat_load_b32 v8, v[8:9] scope:SCOPE_SYS
	s_wait_loadcnt_dscnt 0x0
	global_inv scope:SCOPE_SYS
	v_cmp_eq_u32_e32 vcc_lo, 0, v8
	s_and_b32 s75, vcc_lo, exec_lo
	s_delay_alu instid0(SALU_CYCLE_1)
	s_or_b32 s74, s74, s75
	s_mov_b32 s76, -1
	s_or_b32 s72, s72, exec_lo
	s_and_saveexec_b32 s75, s74
	s_cbranch_execz .LBB4_911
.LBB4_915:                              ;   in Loop: Header=BB4_912 Depth=4
	s_sleep 1
	s_trap 2
	ds_load_b64 v[8:9], v0
	s_wait_dscnt 0x0
	s_and_not1_b32 s72, s72, exec_lo
	v_cmp_ge_u64_e32 vcc_lo, v[8:9], v[48:49]
	s_or_not1_b32 s76, vcc_lo, exec_lo
	s_branch .LBB4_911
.LBB4_916:                              ;   in Loop: Header=BB4_754 Depth=3
	s_or_b32 exec_lo, exec_lo, s17
	s_and_saveexec_b32 s17, s43
	s_delay_alu instid0(SALU_CYCLE_1)
	s_xor_b32 s17, exec_lo, s17
	s_cbranch_execz .LBB4_918
; %bb.917:                              ;   in Loop: Header=BB4_754 Depth=3
	ds_store_b32 v0, v107
	s_trap 2
.LBB4_918:                              ;   in Loop: Header=BB4_754 Depth=3
	s_or_b32 exec_lo, exec_lo, s16
	;;#ASMSTART
	s_wakeup
	;;#ASMEND
.LBB4_919:                              ;   in Loop: Header=BB4_754 Depth=3
	s_or_b32 exec_lo, exec_lo, s15
.LBB4_920:                              ;   in Loop: Header=BB4_754 Depth=3
	s_and_not1_saveexec_b32 s14, s14
	s_cbranch_execz .LBB4_922
; %bb.921:                              ;   in Loop: Header=BB4_754 Depth=3
	;;#ASMSTART
	s_waitcnt lgkmcnt(0) vmcnt(0)
	;;#ASMEND
	s_barrier_signal -1
	s_barrier_wait -1
.LBB4_922:                              ;   in Loop: Header=BB4_754 Depth=3
	s_or_b32 exec_lo, exec_lo, s14
	v_and_b32_e32 v8, 16, v30
.LBB4_923:                              ;   in Loop: Header=BB4_754 Depth=3
	s_or_b32 exec_lo, exec_lo, s13
	s_delay_alu instid0(VALU_DEP_1) | instskip(SKIP_1) | instid1(SALU_CYCLE_1)
	v_cmp_ne_u32_e32 vcc_lo, 0, v8
	s_xor_b32 s13, s4, -1
	s_and_b32 s14, vcc_lo, s13
	s_delay_alu instid0(SALU_CYCLE_1)
	s_and_saveexec_b32 s13, s14
	s_cbranch_execz .LBB4_925
; %bb.924:                              ;   in Loop: Header=BB4_754 Depth=3
	global_wb scope:SCOPE_SYS
	s_wait_storecnt 0x0
	s_wait_loadcnt_dscnt 0x0
	flat_store_b32 v[38:39], v107 scope:SCOPE_SYS
.LBB4_925:                              ;   in Loop: Header=BB4_754 Depth=3
	s_wait_xcnt 0x0
	s_or_b32 exec_lo, exec_lo, s13
	v_and_b32_e32 v8, 48, v30
	s_mov_b32 s13, exec_lo
	s_delay_alu instid0(VALU_DEP_1)
	v_cmpx_ne_u32_e32 0, v8
	s_cbranch_execz .LBB4_753
; %bb.926:                              ;   in Loop: Header=BB4_754 Depth=3
	v_add_nc_u64_e32 v[114:115], 2, v[114:115]
	global_wb scope:SCOPE_SYS
	s_wait_storecnt 0x0
	s_wait_loadcnt_dscnt 0x0
	flat_store_b64 v[32:33], v[114:115] scope:SCOPE_SYS
	s_branch .LBB4_753
.LBB4_927:                              ;   in Loop: Header=BB4_751 Depth=2
	s_or_b32 exec_lo, exec_lo, s20
.LBB4_928:                              ;   in Loop: Header=BB4_751 Depth=2
	s_delay_alu instid0(SALU_CYCLE_1) | instskip(NEXT) | instid1(SALU_CYCLE_1)
	s_or_b32 exec_lo, exec_lo, s19
	s_mov_b32 s14, exec_lo
	v_cmpx_gt_i32_e32 2, v10
	s_cbranch_execz .LBB4_1004
; %bb.929:                              ;   in Loop: Header=BB4_751 Depth=2
	v_cmp_eq_u32_e64 s16, 0, v10
	s_mov_b32 s15, 0
	s_branch .LBB4_931
.LBB4_930:                              ;   in Loop: Header=BB4_931 Depth=3
	s_wait_xcnt 0x0
	s_or_b32 exec_lo, exec_lo, s13
	v_add_nc_u32_e32 v14, v12, v14
	s_mov_b32 s16, 0
	s_and_not1_b32 exec_lo, exec_lo, s15
	s_cbranch_execz .LBB4_1003
.LBB4_931:                              ;   Parent Loop BB4_47 Depth=1
                                        ;     Parent Loop BB4_751 Depth=2
                                        ; =>    This Loop Header: Depth=3
                                        ;         Child Loop BB4_937 Depth 4
                                        ;         Child Loop BB4_965 Depth 4
                                        ;         Child Loop BB4_988 Depth 4
	s_delay_alu instid0(VALU_DEP_1) | instskip(SKIP_2) | instid1(VALU_DEP_2)
	v_sub_nc_u32_e32 v8, v3, v14
	v_and_b32_e32 v9, 12, v30
	s_mov_b32 s17, exec_lo
	v_min_i32_e32 v12, v12, v8
	s_delay_alu instid0(VALU_DEP_2)
	v_cmpx_ne_u32_e32 0, v9
	s_cbranch_execz .LBB4_957
; %bb.932:                              ;   in Loop: Header=BB4_931 Depth=3
	v_dual_mov_b32 v11, v2 :: v_dual_bitop2_b32 v10, 8, v30 bitop3:0x40
	v_add_nc_u64_e32 v[8:9], 2, v[114:115]
	s_mov_b32 s19, exec_lo
	s_wait_loadcnt_dscnt 0x1
	s_delay_alu instid0(VALU_DEP_2) | instskip(NEXT) | instid1(VALU_DEP_1)
	v_add_nc_u64_e32 v[16:17], v[50:51], v[10:11]
	v_cmpx_lt_u64_e64 v[16:17], v[8:9]
	s_cbranch_execz .LBB4_944
; %bb.933:                              ;   in Loop: Header=BB4_931 Depth=3
	v_and_b32_e32 v13, 64, v30
	s_mov_b32 s20, 0
	s_mov_b32 s72, 0
                                        ; implicit-def: $sgpr21
                                        ; implicit-def: $sgpr24
                                        ; implicit-def: $sgpr43
	s_delay_alu instid0(VALU_DEP_1)
	v_cmp_eq_u32_e32 vcc_lo, 0, v13
	s_branch .LBB4_937
.LBB4_934:                              ;   in Loop: Header=BB4_937 Depth=4
	s_wait_loadcnt_dscnt 0x0
	v_add_nc_u64_e32 v[16:17], v[50:51], v[10:11]
	s_or_b32 s75, s75, exec_lo
	s_delay_alu instid0(VALU_DEP_1)
	v_cmp_ge_u64_e64 s13, v[16:17], v[8:9]
	s_or_not1_b32 s74, s13, exec_lo
.LBB4_935:                              ;   in Loop: Header=BB4_937 Depth=4
	s_or_b32 exec_lo, exec_lo, s77
	s_delay_alu instid0(SALU_CYCLE_1)
	s_and_not1_b32 s13, s43, exec_lo
	s_and_b32 s43, s75, exec_lo
	s_and_not1_b32 s24, s24, exec_lo
	s_and_b32 s74, s74, exec_lo
	s_or_b32 s43, s13, s43
	s_or_b32 s24, s24, s74
.LBB4_936:                              ;   in Loop: Header=BB4_937 Depth=4
	s_or_b32 exec_lo, exec_lo, s73
	s_delay_alu instid0(SALU_CYCLE_1) | instskip(NEXT) | instid1(SALU_CYCLE_1)
	s_and_b32 s13, exec_lo, s24
	s_or_b32 s20, s13, s20
	s_and_not1_b32 s13, s21, exec_lo
	s_and_b32 s21, s43, exec_lo
	s_delay_alu instid0(SALU_CYCLE_1)
	s_or_b32 s21, s13, s21
	s_and_not1_b32 exec_lo, exec_lo, s20
	s_cbranch_execz .LBB4_941
.LBB4_937:                              ;   Parent Loop BB4_47 Depth=1
                                        ;     Parent Loop BB4_751 Depth=2
                                        ;       Parent Loop BB4_931 Depth=3
                                        ; =>      This Inner Loop Header: Depth=4
	s_sleep 1
	s_wait_loadcnt_dscnt 0x0
	flat_load_b64 v[50:51], v[32:33] scope:SCOPE_SYS
	s_or_b32 s43, s43, exec_lo
	s_or_b32 s24, s24, exec_lo
                                        ; implicit-def: $vgpr13
	s_wait_xcnt 0x0
	s_and_saveexec_b32 s73, vcc_lo
	s_cbranch_execz .LBB4_936
; %bb.938:                              ;   in Loop: Header=BB4_937 Depth=4
	s_cmp_lt_i32 s72, 0x270f
	s_mov_b32 s74, -1
	s_cselect_b32 s76, -1, 0
	s_cmp_gt_i32 s72, 0x270e
	s_cbranch_scc0 .LBB4_940
; %bb.939:                              ;   in Loop: Header=BB4_937 Depth=4
	s_trap 2
	ds_load_b64 v[16:17], v0
	s_and_not1_b32 s72, s76, exec_lo
	s_mov_b32 s75, 0
	s_wait_storecnt 0x0
	s_wait_loadcnt_dscnt 0x0
	flat_load_b32 v13, v[16:17] scope:SCOPE_SYS
	s_wait_loadcnt_dscnt 0x0
	global_inv scope:SCOPE_SYS
	v_cmp_eq_u32_e64 s13, 0, v13
	s_and_b32 s13, s13, exec_lo
	s_delay_alu instid0(SALU_CYCLE_1)
	s_or_b32 s76, s72, s13
	s_mov_b32 s72, 0
	s_and_saveexec_b32 s77, s76
	s_cbranch_execz .LBB4_935
	s_branch .LBB4_934
.LBB4_940:                              ;   in Loop: Header=BB4_937 Depth=4
	s_add_co_i32 s72, s72, 1
	s_mov_b32 s75, -1
                                        ; implicit-def: $vgpr13
	s_and_saveexec_b32 s77, s76
	s_cbranch_execz .LBB4_935
	s_branch .LBB4_934
.LBB4_941:                              ;   in Loop: Header=BB4_931 Depth=3
	s_or_b32 exec_lo, exec_lo, s20
	s_xor_b32 s13, s21, -1
	s_delay_alu instid0(SALU_CYCLE_1) | instskip(NEXT) | instid1(SALU_CYCLE_1)
	s_and_saveexec_b32 s20, s13
	s_xor_b32 s13, exec_lo, s20
	s_cbranch_execz .LBB4_943
; %bb.942:                              ;   in Loop: Header=BB4_931 Depth=3
	v_or_b32_e32 v30, 64, v30
	s_wait_storecnt 0x0
	s_wait_loadcnt_dscnt 0x0
	ds_store_b32 v0, v13
	s_trap 2
.LBB4_943:                              ;   in Loop: Header=BB4_931 Depth=3
	s_or_b32 exec_lo, exec_lo, s13
.LBB4_944:                              ;   in Loop: Header=BB4_931 Depth=3
	s_delay_alu instid0(SALU_CYCLE_1) | instskip(SKIP_3) | instid1(VALU_DEP_1)
	s_or_b32 exec_lo, exec_lo, s19
	v_and_b32_e32 v11, 0x108, v30
	s_mov_b32 s13, exec_lo
	;;#ASMSTART
	s_wakeup
	;;#ASMEND
                                        ; implicit-def: $vgpr16_vgpr17
	v_cmpx_ne_u32_e32 0x108, v11
	s_xor_b32 s13, exec_lo, s13
; %bb.945:                              ;   in Loop: Header=BB4_931 Depth=3
	v_dual_mov_b32 v17, v2 :: v_dual_bitop2_b32 v16, 7, v114 bitop3:0x40
                                        ; implicit-def: $vgpr114_vgpr115
; %bb.946:                              ;   in Loop: Header=BB4_931 Depth=3
	s_and_not1_saveexec_b32 s13, s13
	s_cbranch_execz .LBB4_948
; %bb.947:                              ;   in Loop: Header=BB4_931 Depth=3
	v_dual_ashrrev_i32 v13, 31, v12 :: v_dual_bitop2_b32 v16, 7, v114 bitop3:0x40
	v_mov_b32_e32 v17, v2
	s_delay_alu instid0(VALU_DEP_2) | instskip(NEXT) | instid1(VALU_DEP_3)
	v_mad_nc_u64_u32 v[18:19], v16, 24, v[6:7]
	v_lshlrev_b64_e32 v[20:21], 2, v[12:13]
	flat_store_b64 v[18:19], v[20:21] offset:8
.LBB4_948:                              ;   in Loop: Header=BB4_931 Depth=3
	s_wait_xcnt 0x0
	s_or_b32 exec_lo, exec_lo, s13
	v_and_b32_e32 v11, 0x100, v30
	s_mov_b32 s13, -1
	s_mov_b32 s19, exec_lo
                                        ; implicit-def: $vgpr18_vgpr19
	s_delay_alu instid0(VALU_DEP_1)
	v_cmpx_ne_u32_e32 0, v11
	s_cbranch_execz .LBB4_952
; %bb.949:                              ;   in Loop: Header=BB4_931 Depth=3
	v_mad_nc_u64_u32 v[20:21], v16, 24, v[6:7]
	s_mov_b32 s20, exec_lo
                                        ; implicit-def: $vgpr18_vgpr19
	s_delay_alu instid0(VALU_DEP_1)
	v_mad_u32 v21, v17, 24, v21
	flat_load_b32 v11, v[20:21]
	s_wait_loadcnt_dscnt 0x0
	v_cmp_ne_u32_e32 vcc_lo, 1, v11
	s_wait_xcnt 0x0
	v_cmpx_eq_u32_e32 1, v11
	s_cbranch_execz .LBB4_951
; %bb.950:                              ;   in Loop: Header=BB4_931 Depth=3
	flat_load_b32 v18, v[20:21] offset:4 scope:SCOPE_SYS
	s_wait_loadcnt_dscnt 0x0
	v_ashrrev_i32_e32 v19, 31, v18
	s_delay_alu instid0(VALU_DEP_1)
	v_lshrrev_b64 v[18:19], 2, v[18:19]
.LBB4_951:                              ;   in Loop: Header=BB4_931 Depth=3
	s_wait_xcnt 0x0
	s_or_b32 exec_lo, exec_lo, s20
	s_delay_alu instid0(SALU_CYCLE_1)
	s_or_not1_b32 s13, vcc_lo, exec_lo
.LBB4_952:                              ;   in Loop: Header=BB4_931 Depth=3
	s_or_b32 exec_lo, exec_lo, s19
	s_and_saveexec_b32 s19, s13
; %bb.953:                              ;   in Loop: Header=BB4_931 Depth=3
	v_mul_u64_e32 v[18:19], v[16:17], v[34:35]
; %bb.954:                              ;   in Loop: Header=BB4_931 Depth=3
	s_or_b32 exec_lo, exec_lo, s19
	v_cmp_eq_u32_e32 vcc_lo, 0, v10
	v_and_b32_e32 v15, 0x2000, v30
	s_delay_alu instid0(VALU_DEP_3) | instskip(SKIP_2) | instid1(VALU_DEP_1)
	v_lshl_add_u64 v[10:11], v[18:19], 2, v[36:37]
	s_mov_b32 s13, exec_lo
	v_cndmask_b32_e32 v13, 0xd0, v109, vcc_lo
	v_add_nc_u32_e32 v13, v0, v13
	ds_store_b64 v13, v[10:11] offset:584
	v_cmpx_ne_u32_e32 0, v15
	s_cbranch_execz .LBB4_956
; %bb.955:                              ;   in Loop: Header=BB4_931 Depth=3
	ds_load_b64 v[10:11], v0 offset:872
	s_wait_dscnt 0x0
	v_add_nc_u64_e32 v[10:11], 1, v[10:11]
	ds_store_b64 v0, v[10:11] offset:872
.LBB4_956:                              ;   in Loop: Header=BB4_931 Depth=3
	s_or_b32 exec_lo, exec_lo, s13
	v_mov_b64_e32 v[114:115], v[8:9]
.LBB4_957:                              ;   in Loop: Header=BB4_931 Depth=3
	s_or_b32 exec_lo, exec_lo, s17
	s_xor_b32 s13, s16, -1
	s_delay_alu instid0(SALU_CYCLE_1) | instskip(NEXT) | instid1(SALU_CYCLE_1)
	s_and_b32 s13, exec_lo, s13
	s_or_b32 s15, s13, s15
	s_and_saveexec_b32 s13, s2
	s_cbranch_execz .LBB4_976
; %bb.958:                              ;   in Loop: Header=BB4_931 Depth=3
	s_and_saveexec_b32 s16, s3
	s_delay_alu instid0(SALU_CYCLE_1)
	s_xor_b32 s16, exec_lo, s16
	s_cbranch_execz .LBB4_973
; %bb.959:                              ;   in Loop: Header=BB4_931 Depth=3
	s_and_saveexec_b32 s17, s6
	s_cbranch_execz .LBB4_972
; %bb.960:                              ;   in Loop: Header=BB4_931 Depth=3
	s_mov_b32 s20, exec_lo
	s_mov_b32 s19, exec_lo
	v_mbcnt_lo_u32_b32 v8, s20, 0
	global_wb scope:SCOPE_DEV
	s_wait_storecnt 0x0
	s_wait_loadcnt_dscnt 0x0
	global_inv scope:SCOPE_DEV
	v_cmpx_eq_u32_e32 0, v8
	s_cbranch_execz .LBB4_962
; %bb.961:                              ;   in Loop: Header=BB4_931 Depth=3
	s_bcnt1_i32_b32 s20, s20
	s_delay_alu instid0(SALU_CYCLE_1)
	v_dual_mov_b32 v9, v2 :: v_dual_mov_b32 v8, s20
	s_wait_loadcnt 0x0
	ds_add_u64 v0, v[8:9]
	s_trap 2
.LBB4_962:                              ;   in Loop: Header=BB4_931 Depth=3
	s_or_b32 exec_lo, exec_lo, s19
	s_trap 2
	ds_load_b64 v[8:9], v0
	s_wait_dscnt 0x0
	v_add_nc_u64_e32 v[48:49], v[48:49], v[52:53]
	s_mov_b32 s19, exec_lo
	s_delay_alu instid0(VALU_DEP_1)
	v_cmpx_lt_u64_e64 v[8:9], v[48:49]
	s_cbranch_execz .LBB4_971
; %bb.963:                              ;   in Loop: Header=BB4_931 Depth=3
	s_mov_b32 s20, 0
	s_mov_b32 s43, 0
                                        ; implicit-def: $sgpr21
                                        ; implicit-def: $sgpr24
	s_branch .LBB4_965
.LBB4_964:                              ;   in Loop: Header=BB4_965 Depth=4
	s_or_b32 exec_lo, exec_lo, s73
	s_delay_alu instid0(SALU_CYCLE_1) | instskip(NEXT) | instid1(SALU_CYCLE_1)
	s_and_b32 s72, exec_lo, s74
	s_or_b32 s20, s72, s20
	s_and_not1_b32 s21, s21, exec_lo
	s_and_b32 s72, s24, exec_lo
	s_delay_alu instid0(SALU_CYCLE_1)
	s_or_b32 s21, s21, s72
	s_and_not1_b32 exec_lo, exec_lo, s20
	s_cbranch_execz .LBB4_969
.LBB4_965:                              ;   Parent Loop BB4_47 Depth=1
                                        ;     Parent Loop BB4_751 Depth=2
                                        ;       Parent Loop BB4_931 Depth=3
                                        ; =>      This Inner Loop Header: Depth=4
	s_add_co_i32 s43, s43, 1
	s_delay_alu instid0(SALU_CYCLE_1) | instskip(SKIP_1) | instid1(SALU_CYCLE_1)
	s_cmp_lg_u32 s43, 0x2710
	s_cselect_b32 s72, -1, 0
	s_and_b32 vcc_lo, exec_lo, s72
	s_cbranch_vccz .LBB4_967
; %bb.966:                              ;   in Loop: Header=BB4_965 Depth=4
	s_mov_b32 s74, -1
	s_or_b32 s24, s24, exec_lo
	s_and_saveexec_b32 s73, s72
	s_cbranch_execz .LBB4_964
	s_branch .LBB4_968
.LBB4_967:                              ;   in Loop: Header=BB4_965 Depth=4
	s_trap 2
	ds_load_b64 v[8:9], v0
	s_and_not1_b32 s72, s72, exec_lo
	s_mov_b32 s43, 0
	s_wait_loadcnt_dscnt 0x0
	flat_load_b32 v8, v[8:9] scope:SCOPE_SYS
	s_wait_loadcnt_dscnt 0x0
	global_inv scope:SCOPE_SYS
	v_cmp_eq_u32_e32 vcc_lo, 0, v8
	s_and_b32 s73, vcc_lo, exec_lo
	s_delay_alu instid0(SALU_CYCLE_1)
	s_or_b32 s72, s72, s73
	s_mov_b32 s74, -1
	s_or_b32 s24, s24, exec_lo
	s_and_saveexec_b32 s73, s72
	s_cbranch_execz .LBB4_964
.LBB4_968:                              ;   in Loop: Header=BB4_965 Depth=4
	s_sleep 1
	s_trap 2
	ds_load_b64 v[8:9], v0
	s_wait_dscnt 0x0
	s_and_not1_b32 s24, s24, exec_lo
	v_cmp_ge_u64_e32 vcc_lo, v[8:9], v[48:49]
	s_or_not1_b32 s74, vcc_lo, exec_lo
	s_branch .LBB4_964
.LBB4_969:                              ;   in Loop: Header=BB4_931 Depth=3
	s_or_b32 exec_lo, exec_lo, s20
	s_and_saveexec_b32 s20, s21
	s_delay_alu instid0(SALU_CYCLE_1)
	s_xor_b32 s20, exec_lo, s20
	s_cbranch_execz .LBB4_971
; %bb.970:                              ;   in Loop: Header=BB4_931 Depth=3
	ds_store_b32 v0, v107
	s_trap 2
.LBB4_971:                              ;   in Loop: Header=BB4_931 Depth=3
	s_or_b32 exec_lo, exec_lo, s19
	;;#ASMSTART
	s_wakeup
	;;#ASMEND
.LBB4_972:                              ;   in Loop: Header=BB4_931 Depth=3
	s_or_b32 exec_lo, exec_lo, s17
.LBB4_973:                              ;   in Loop: Header=BB4_931 Depth=3
	s_and_not1_saveexec_b32 s16, s16
	s_cbranch_execz .LBB4_975
; %bb.974:                              ;   in Loop: Header=BB4_931 Depth=3
	global_wb scope:SCOPE_DEV
	s_wait_storecnt 0x0
	s_wait_loadcnt_dscnt 0x0
	global_inv scope:SCOPE_DEV
	s_barrier_signal -1
	s_barrier_wait -1
.LBB4_975:                              ;   in Loop: Header=BB4_931 Depth=3
	s_or_b32 exec_lo, exec_lo, s16
.LBB4_976:                              ;   in Loop: Header=BB4_931 Depth=3
	s_delay_alu instid0(SALU_CYCLE_1) | instskip(SKIP_1) | instid1(SALU_CYCLE_1)
	s_or_b32 exec_lo, exec_lo, s13
                                        ; implicit-def: $vgpr8
	s_and_saveexec_b32 s13, s12
	s_xor_b32 s16, exec_lo, s13
	s_cbranch_execz .LBB4_980
; %bb.977:                              ;   in Loop: Header=BB4_931 Depth=3
	s_trap 2
	ds_load_b32 v8, v0
	v_cmp_lt_i32_e32 vcc_lo, 0, v12
	s_wait_dscnt 0x0
	v_readfirstlane_b32 s13, v8
	v_and_b32_e32 v8, 16, v30
	s_cmp_eq_u32 s13, 0
	s_delay_alu instid0(VALU_DEP_1) | instskip(SKIP_3) | instid1(SALU_CYCLE_1)
	v_cmp_ne_u32_e64 s13, 0, v8
	s_cselect_b32 s17, -1, 0
	v_and_b32_e32 v8, 16, v30
	s_and_b32 s17, vcc_lo, s17
	s_and_b32 s17, s13, s17
	s_delay_alu instid0(SALU_CYCLE_1)
	s_and_saveexec_b32 s13, s17
	s_cbranch_execz .LBB4_979
; %bb.978:                              ;   in Loop: Header=BB4_931 Depth=3
	v_mov_b32_e32 v8, 1
	global_wb scope:SCOPE_SYS
	s_wait_loadcnt 0x0
	s_wait_storecnt 0x0
	global_inv scope:SCOPE_SYS
.LBB4_979:                              ;   in Loop: Header=BB4_931 Depth=3
	s_or_b32 exec_lo, exec_lo, s13
	s_and_not1_saveexec_b32 s13, s16
	s_cbranch_execz .LBB4_999
	s_branch .LBB4_981
.LBB4_980:                              ;   in Loop: Header=BB4_931 Depth=3
	s_and_not1_saveexec_b32 s13, s16
	s_cbranch_execz .LBB4_999
.LBB4_981:                              ;   in Loop: Header=BB4_931 Depth=3
	s_and_saveexec_b32 s16, s3
	s_delay_alu instid0(SALU_CYCLE_1)
	s_xor_b32 s16, exec_lo, s16
	s_cbranch_execz .LBB4_996
; %bb.982:                              ;   in Loop: Header=BB4_931 Depth=3
	s_and_saveexec_b32 s17, s6
	s_cbranch_execz .LBB4_995
; %bb.983:                              ;   in Loop: Header=BB4_931 Depth=3
	s_mov_b32 s20, exec_lo
	s_mov_b32 s19, exec_lo
	v_mbcnt_lo_u32_b32 v8, s20, 0
	;;#ASMSTART
	s_waitcnt lgkmcnt(0) vmcnt(0)
	;;#ASMEND
	s_delay_alu instid0(VALU_DEP_1)
	v_cmpx_eq_u32_e32 0, v8
	s_cbranch_execz .LBB4_985
; %bb.984:                              ;   in Loop: Header=BB4_931 Depth=3
	s_bcnt1_i32_b32 s20, s20
	s_delay_alu instid0(SALU_CYCLE_1)
	v_dual_mov_b32 v9, v2 :: v_dual_mov_b32 v8, s20
	s_wait_storecnt 0x0
	s_wait_loadcnt_dscnt 0x0
	ds_add_u64 v0, v[8:9]
	s_trap 2
.LBB4_985:                              ;   in Loop: Header=BB4_931 Depth=3
	s_or_b32 exec_lo, exec_lo, s19
	s_trap 2
	ds_load_b64 v[8:9], v0
	s_wait_dscnt 0x0
	v_add_nc_u64_e32 v[48:49], v[48:49], v[52:53]
	s_mov_b32 s19, exec_lo
	s_delay_alu instid0(VALU_DEP_1)
	v_cmpx_lt_u64_e64 v[8:9], v[48:49]
	s_cbranch_execz .LBB4_994
; %bb.986:                              ;   in Loop: Header=BB4_931 Depth=3
	s_mov_b32 s20, 0
	s_mov_b32 s43, 0
                                        ; implicit-def: $sgpr21
                                        ; implicit-def: $sgpr24
	s_branch .LBB4_988
.LBB4_987:                              ;   in Loop: Header=BB4_988 Depth=4
	s_or_b32 exec_lo, exec_lo, s73
	s_delay_alu instid0(SALU_CYCLE_1) | instskip(NEXT) | instid1(SALU_CYCLE_1)
	s_and_b32 s72, exec_lo, s74
	s_or_b32 s20, s72, s20
	s_and_not1_b32 s21, s21, exec_lo
	s_and_b32 s72, s24, exec_lo
	s_delay_alu instid0(SALU_CYCLE_1)
	s_or_b32 s21, s21, s72
	s_and_not1_b32 exec_lo, exec_lo, s20
	s_cbranch_execz .LBB4_992
.LBB4_988:                              ;   Parent Loop BB4_47 Depth=1
                                        ;     Parent Loop BB4_751 Depth=2
                                        ;       Parent Loop BB4_931 Depth=3
                                        ; =>      This Inner Loop Header: Depth=4
	s_add_co_i32 s43, s43, 1
	s_delay_alu instid0(SALU_CYCLE_1) | instskip(SKIP_1) | instid1(SALU_CYCLE_1)
	s_cmp_lg_u32 s43, 0x2710
	s_cselect_b32 s72, -1, 0
	s_and_b32 vcc_lo, exec_lo, s72
	s_cbranch_vccz .LBB4_990
; %bb.989:                              ;   in Loop: Header=BB4_988 Depth=4
	s_mov_b32 s74, -1
	s_or_b32 s24, s24, exec_lo
	s_and_saveexec_b32 s73, s72
	s_cbranch_execz .LBB4_987
	s_branch .LBB4_991
.LBB4_990:                              ;   in Loop: Header=BB4_988 Depth=4
	s_trap 2
	ds_load_b64 v[8:9], v0
	s_and_not1_b32 s72, s72, exec_lo
	s_mov_b32 s43, 0
	s_wait_storecnt 0x0
	s_wait_loadcnt_dscnt 0x0
	flat_load_b32 v8, v[8:9] scope:SCOPE_SYS
	s_wait_loadcnt_dscnt 0x0
	global_inv scope:SCOPE_SYS
	v_cmp_eq_u32_e32 vcc_lo, 0, v8
	s_and_b32 s73, vcc_lo, exec_lo
	s_delay_alu instid0(SALU_CYCLE_1)
	s_or_b32 s72, s72, s73
	s_mov_b32 s74, -1
	s_or_b32 s24, s24, exec_lo
	s_and_saveexec_b32 s73, s72
	s_cbranch_execz .LBB4_987
.LBB4_991:                              ;   in Loop: Header=BB4_988 Depth=4
	s_sleep 1
	s_trap 2
	ds_load_b64 v[8:9], v0
	s_wait_dscnt 0x0
	s_and_not1_b32 s24, s24, exec_lo
	v_cmp_ge_u64_e32 vcc_lo, v[8:9], v[48:49]
	s_or_not1_b32 s74, vcc_lo, exec_lo
	s_branch .LBB4_987
.LBB4_992:                              ;   in Loop: Header=BB4_931 Depth=3
	s_or_b32 exec_lo, exec_lo, s20
	s_and_saveexec_b32 s20, s21
	s_delay_alu instid0(SALU_CYCLE_1)
	s_xor_b32 s20, exec_lo, s20
	s_cbranch_execz .LBB4_994
; %bb.993:                              ;   in Loop: Header=BB4_931 Depth=3
	ds_store_b32 v0, v107
	s_trap 2
.LBB4_994:                              ;   in Loop: Header=BB4_931 Depth=3
	s_or_b32 exec_lo, exec_lo, s19
	;;#ASMSTART
	s_wakeup
	;;#ASMEND
.LBB4_995:                              ;   in Loop: Header=BB4_931 Depth=3
	s_or_b32 exec_lo, exec_lo, s17
.LBB4_996:                              ;   in Loop: Header=BB4_931 Depth=3
	s_and_not1_saveexec_b32 s16, s16
	s_cbranch_execz .LBB4_998
; %bb.997:                              ;   in Loop: Header=BB4_931 Depth=3
	;;#ASMSTART
	s_waitcnt lgkmcnt(0) vmcnt(0)
	;;#ASMEND
	s_barrier_signal -1
	s_barrier_wait -1
.LBB4_998:                              ;   in Loop: Header=BB4_931 Depth=3
	s_or_b32 exec_lo, exec_lo, s16
	v_and_b32_e32 v8, 16, v30
.LBB4_999:                              ;   in Loop: Header=BB4_931 Depth=3
	s_or_b32 exec_lo, exec_lo, s13
	s_delay_alu instid0(VALU_DEP_1) | instskip(SKIP_1) | instid1(SALU_CYCLE_1)
	v_cmp_ne_u32_e32 vcc_lo, 0, v8
	s_xor_b32 s13, s4, -1
	s_and_b32 s16, vcc_lo, s13
	s_delay_alu instid0(SALU_CYCLE_1)
	s_and_saveexec_b32 s13, s16
	s_cbranch_execz .LBB4_1001
; %bb.1000:                             ;   in Loop: Header=BB4_931 Depth=3
	global_wb scope:SCOPE_SYS
	s_wait_storecnt 0x0
	s_wait_loadcnt_dscnt 0x0
	flat_store_b32 v[38:39], v107 scope:SCOPE_SYS
.LBB4_1001:                             ;   in Loop: Header=BB4_931 Depth=3
	s_wait_xcnt 0x0
	s_or_b32 exec_lo, exec_lo, s13
	v_and_b32_e32 v8, 48, v30
	s_mov_b32 s13, exec_lo
	s_delay_alu instid0(VALU_DEP_1)
	v_cmpx_ne_u32_e32 0, v8
	s_cbranch_execz .LBB4_930
; %bb.1002:                             ;   in Loop: Header=BB4_931 Depth=3
	v_add_nc_u64_e32 v[114:115], 2, v[114:115]
	global_wb scope:SCOPE_SYS
	s_wait_storecnt 0x0
	s_wait_loadcnt_dscnt 0x0
	flat_store_b64 v[32:33], v[114:115] scope:SCOPE_SYS
	s_branch .LBB4_930
.LBB4_1003:                             ;   in Loop: Header=BB4_751 Depth=2
	s_or_b32 exec_lo, exec_lo, s15
.LBB4_1004:                             ;   in Loop: Header=BB4_751 Depth=2
	s_delay_alu instid0(SALU_CYCLE_1)
	s_or_b32 exec_lo, exec_lo, s14
	s_add_co_i32 s13, s18, 1
	s_cmp_eq_u32 s18, s60
	s_cbranch_scc1 .LBB4_1006
; %bb.1005:                             ;   in Loop: Header=BB4_751 Depth=2
	s_mov_b32 s18, s13
	s_branch .LBB4_751
.LBB4_1006:                             ;   in Loop: Header=BB4_47 Depth=1
	v_mul_u64_e32 v[10:11], s[44:45], v[112:113]
	s_delay_alu instid0(VALU_DEP_1) | instskip(NEXT) | instid1(VALU_DEP_1)
	v_sub_nc_u64_e32 v[8:9], v[116:117], v[10:11]
	v_min_i64 v[8:9], v[112:113], v[8:9]
	s_delay_alu instid0(VALU_DEP_1) | instskip(SKIP_1) | instid1(VALU_DEP_2)
	v_max_i32_e32 v3, 0, v8
	v_cmp_lt_i32_e32 vcc_lo, 0, v8
	v_dual_mov_b32 v8, 0 :: v_dual_add_nc_u32 v9, 31, v3
	s_and_b32 s13, s61, vcc_lo
	s_delay_alu instid0(VALU_DEP_1) | instskip(NEXT) | instid1(VALU_DEP_1)
	v_lshrrev_b32_e32 v9, 1, v9
	v_and_b32_e32 v12, 0x3ffffff0, v9
	s_delay_alu instid0(VALU_DEP_1)
	v_dual_mov_b32 v9, 0 :: v_dual_max_i32 v22, s57, v12
	s_and_saveexec_b32 s14, s13
	s_cbranch_execz .LBB4_1144
; %bb.1007:                             ;   in Loop: Header=BB4_47 Depth=1
	v_add_nc_u64_e32 v[8:9], v[10:11], v[118:119]
	s_mov_b32 s17, 1
	s_mov_b32 s16, -1
	s_mov_b32 s15, 0
	s_delay_alu instid0(VALU_DEP_1)
	v_lshlrev_b64_e32 v[10:11], 2, v[8:9]
	v_mov_b32_e32 v8, 0
	s_branch .LBB4_1009
.LBB4_1008:                             ;   in Loop: Header=BB4_1009 Depth=2
	s_wait_xcnt 0x0
	s_or_b32 exec_lo, exec_lo, s13
	v_dual_mov_b32 v9, s17 :: v_dual_add_nc_u32 v8, v22, v8
	s_xor_b32 s13, s16, -1
	s_mov_b32 s16, 0
	s_mov_b32 s17, 2
	s_delay_alu instid0(VALU_DEP_1) | instskip(SKIP_1) | instid1(SALU_CYCLE_1)
	v_cmp_ge_i32_e32 vcc_lo, v8, v3
	s_or_b32 s13, s13, vcc_lo
	s_and_b32 s13, exec_lo, s13
	s_delay_alu instid0(SALU_CYCLE_1) | instskip(NEXT) | instid1(SALU_CYCLE_1)
	s_or_b32 s15, s13, s15
	s_and_not1_b32 exec_lo, exec_lo, s15
	s_cbranch_execz .LBB4_1143
.LBB4_1009:                             ;   Parent Loop BB4_47 Depth=1
                                        ; =>  This Loop Header: Depth=2
                                        ;       Child Loop BB4_1017 Depth 3
                                        ;       Child Loop BB4_1041 Depth 3
	;; [unrolled: 1-line block ×9, first 2 shown]
	s_and_saveexec_b32 s13, s0
	s_cbranch_execz .LBB4_1011
; %bb.1010:                             ;   in Loop: Header=BB4_1009 Depth=2
	s_trap 2
	ds_load_b128 v[12:15], v0
	s_wait_dscnt 0x0
	v_cmp_ne_u64_e32 vcc_lo, 0, v[14:15]
	v_ashrrev_i32_e32 v9, 31, v8
	v_add_nc_u64_e32 v[18:19], v[14:15], v[10:11]
	v_add_nc_u64_e32 v[12:13], v[12:13], v[10:11]
	s_delay_alu instid0(VALU_DEP_3) | instskip(NEXT) | instid1(VALU_DEP_1)
	v_lshlrev_b64_e32 v[16:17], 2, v[8:9]
	v_add_nc_u64_e32 v[18:19], v[18:19], v[16:17]
	s_delay_alu instid0(VALU_DEP_3) | instskip(NEXT) | instid1(VALU_DEP_2)
	v_add_nc_u64_e32 v[12:13], v[12:13], v[16:17]
	v_dual_cndmask_b32 v15, 0, v19 :: v_dual_cndmask_b32 v14, 0, v18
	ds_store_b64 v0, v[12:13]
	ds_store_b64 v0, v[14:15]
.LBB4_1011:                             ;   in Loop: Header=BB4_1009 Depth=2
	s_or_b32 exec_lo, exec_lo, s13
	v_and_b32_e32 v9, 4, v30
	s_mov_b32 s18, exec_lo
	s_delay_alu instid0(VALU_DEP_1)
	v_cmpx_ne_u32_e32 0, v9
	s_cbranch_execz .LBB4_1033
; %bb.1012:                             ;   in Loop: Header=BB4_1009 Depth=2
	v_add_nc_u64_e32 v[12:13], 2, v[114:115]
	s_mov_b32 s19, exec_lo
	s_wait_loadcnt_dscnt 0x1
	s_delay_alu instid0(VALU_DEP_1)
	v_cmpx_lt_u64_e64 v[50:51], v[12:13]
	s_cbranch_execz .LBB4_1024
; %bb.1013:                             ;   in Loop: Header=BB4_1009 Depth=2
	v_and_b32_e32 v9, 64, v30
	s_mov_b32 s20, 0
	s_mov_b32 s72, 0
                                        ; implicit-def: $sgpr21
                                        ; implicit-def: $sgpr24
                                        ; implicit-def: $sgpr43
	s_delay_alu instid0(VALU_DEP_1)
	v_cmp_eq_u32_e32 vcc_lo, 0, v9
	s_branch .LBB4_1017
.LBB4_1014:                             ;   in Loop: Header=BB4_1017 Depth=3
	s_wait_loadcnt_dscnt 0x0
	v_cmp_ge_u64_e64 s13, v[50:51], v[12:13]
	s_or_b32 s75, s75, exec_lo
	s_or_not1_b32 s74, s13, exec_lo
.LBB4_1015:                             ;   in Loop: Header=BB4_1017 Depth=3
	s_or_b32 exec_lo, exec_lo, s77
	s_delay_alu instid0(SALU_CYCLE_1)
	s_and_not1_b32 s13, s43, exec_lo
	s_and_b32 s43, s75, exec_lo
	s_and_not1_b32 s24, s24, exec_lo
	s_and_b32 s74, s74, exec_lo
	s_or_b32 s43, s13, s43
	s_or_b32 s24, s24, s74
.LBB4_1016:                             ;   in Loop: Header=BB4_1017 Depth=3
	s_or_b32 exec_lo, exec_lo, s73
	s_delay_alu instid0(SALU_CYCLE_1) | instskip(NEXT) | instid1(SALU_CYCLE_1)
	s_and_b32 s13, exec_lo, s24
	s_or_b32 s20, s13, s20
	s_and_not1_b32 s13, s21, exec_lo
	s_and_b32 s21, s43, exec_lo
	s_delay_alu instid0(SALU_CYCLE_1)
	s_or_b32 s21, s13, s21
	s_and_not1_b32 exec_lo, exec_lo, s20
	s_cbranch_execz .LBB4_1021
.LBB4_1017:                             ;   Parent Loop BB4_47 Depth=1
                                        ;     Parent Loop BB4_1009 Depth=2
                                        ; =>    This Inner Loop Header: Depth=3
	s_sleep 1
	s_wait_loadcnt_dscnt 0x0
	flat_load_b64 v[50:51], v[32:33] scope:SCOPE_SYS
	s_or_b32 s43, s43, exec_lo
	s_or_b32 s24, s24, exec_lo
                                        ; implicit-def: $vgpr9
	s_wait_xcnt 0x0
	s_and_saveexec_b32 s73, vcc_lo
	s_cbranch_execz .LBB4_1016
; %bb.1018:                             ;   in Loop: Header=BB4_1017 Depth=3
	s_cmp_lt_i32 s72, 0x270f
	s_mov_b32 s74, -1
	s_cselect_b32 s76, -1, 0
	s_cmp_gt_i32 s72, 0x270e
	s_cbranch_scc0 .LBB4_1020
; %bb.1019:                             ;   in Loop: Header=BB4_1017 Depth=3
	s_trap 2
	ds_load_b64 v[14:15], v0
	s_and_not1_b32 s72, s76, exec_lo
	s_mov_b32 s75, 0
	s_wait_storecnt 0x0
	s_wait_loadcnt_dscnt 0x0
	flat_load_b32 v9, v[14:15] scope:SCOPE_SYS
	s_wait_loadcnt_dscnt 0x0
	global_inv scope:SCOPE_SYS
	v_cmp_eq_u32_e64 s13, 0, v9
	s_and_b32 s13, s13, exec_lo
	s_delay_alu instid0(SALU_CYCLE_1)
	s_or_b32 s76, s72, s13
	s_mov_b32 s72, 0
	s_and_saveexec_b32 s77, s76
	s_cbranch_execz .LBB4_1015
	s_branch .LBB4_1014
.LBB4_1020:                             ;   in Loop: Header=BB4_1017 Depth=3
	s_add_co_i32 s72, s72, 1
	s_mov_b32 s75, -1
                                        ; implicit-def: $vgpr9
	s_and_saveexec_b32 s77, s76
	s_cbranch_execz .LBB4_1015
	s_branch .LBB4_1014
.LBB4_1021:                             ;   in Loop: Header=BB4_1009 Depth=2
	s_or_b32 exec_lo, exec_lo, s20
	s_xor_b32 s13, s21, -1
	s_delay_alu instid0(SALU_CYCLE_1) | instskip(NEXT) | instid1(SALU_CYCLE_1)
	s_and_saveexec_b32 s20, s13
	s_xor_b32 s13, exec_lo, s20
	s_cbranch_execz .LBB4_1023
; %bb.1022:                             ;   in Loop: Header=BB4_1009 Depth=2
	v_or_b32_e32 v30, 64, v30
	s_wait_storecnt 0x0
	s_wait_loadcnt_dscnt 0x0
	ds_store_b32 v0, v9
	s_trap 2
.LBB4_1023:                             ;   in Loop: Header=BB4_1009 Depth=2
	s_or_b32 exec_lo, exec_lo, s13
.LBB4_1024:                             ;   in Loop: Header=BB4_1009 Depth=2
	s_delay_alu instid0(SALU_CYCLE_1)
	s_or_b32 exec_lo, exec_lo, s19
	v_and_b32_e32 v9, 0x100, v30
	v_dual_mov_b32 v15, v2 :: v_dual_bitop2_b32 v14, 7, v114 bitop3:0x40
	s_mov_b32 s13, -1
	s_mov_b32 s19, exec_lo
	;;#ASMSTART
	s_wakeup
	;;#ASMEND
                                        ; implicit-def: $vgpr16_vgpr17
	v_cmpx_ne_u32_e32 0, v9
	s_cbranch_execz .LBB4_1028
; %bb.1025:                             ;   in Loop: Header=BB4_1009 Depth=2
	v_mad_nc_u64_u32 v[18:19], v14, 24, v[6:7]
	s_mov_b32 s20, exec_lo
                                        ; implicit-def: $vgpr16_vgpr17
	flat_load_b32 v9, v[18:19]
	s_wait_loadcnt_dscnt 0x0
	v_cmp_ne_u32_e32 vcc_lo, 1, v9
	s_wait_xcnt 0x0
	v_cmpx_eq_u32_e32 1, v9
	s_cbranch_execz .LBB4_1027
; %bb.1026:                             ;   in Loop: Header=BB4_1009 Depth=2
	flat_load_b32 v16, v[18:19] offset:4 scope:SCOPE_SYS
	s_wait_loadcnt_dscnt 0x0
	v_ashrrev_i32_e32 v17, 31, v16
	s_delay_alu instid0(VALU_DEP_1)
	v_lshrrev_b64 v[16:17], 2, v[16:17]
.LBB4_1027:                             ;   in Loop: Header=BB4_1009 Depth=2
	s_wait_xcnt 0x0
	s_or_b32 exec_lo, exec_lo, s20
	s_delay_alu instid0(SALU_CYCLE_1)
	s_or_not1_b32 s13, vcc_lo, exec_lo
.LBB4_1028:                             ;   in Loop: Header=BB4_1009 Depth=2
	s_or_b32 exec_lo, exec_lo, s19
	s_and_saveexec_b32 s19, s13
; %bb.1029:                             ;   in Loop: Header=BB4_1009 Depth=2
	v_mul_u64_e32 v[16:17], v[14:15], v[34:35]
; %bb.1030:                             ;   in Loop: Header=BB4_1009 Depth=2
	s_or_b32 exec_lo, exec_lo, s19
	v_and_b32_e32 v9, 0x2000, v30
	s_delay_alu instid0(VALU_DEP_2)
	v_lshl_add_u64 v[14:15], v[16:17], 2, v[36:37]
	s_mov_b32 s13, exec_lo
	ds_store_b64 v0, v[14:15] offset:720
	v_cmpx_ne_u32_e32 0, v9
	s_cbranch_execz .LBB4_1032
; %bb.1031:                             ;   in Loop: Header=BB4_1009 Depth=2
	ds_load_b64 v[14:15], v0 offset:872
	s_wait_dscnt 0x0
	v_add_nc_u64_e32 v[14:15], 1, v[14:15]
	ds_store_b64 v0, v[14:15] offset:872
.LBB4_1032:                             ;   in Loop: Header=BB4_1009 Depth=2
	s_or_b32 exec_lo, exec_lo, s13
	v_mov_b64_e32 v[114:115], v[12:13]
.LBB4_1033:                             ;   in Loop: Header=BB4_1009 Depth=2
	s_or_b32 exec_lo, exec_lo, s18
	s_and_saveexec_b32 s13, s2
	s_cbranch_execz .LBB4_1052
; %bb.1034:                             ;   in Loop: Header=BB4_1009 Depth=2
	s_and_saveexec_b32 s18, s3
	s_delay_alu instid0(SALU_CYCLE_1)
	s_xor_b32 s18, exec_lo, s18
	s_cbranch_execz .LBB4_1049
; %bb.1035:                             ;   in Loop: Header=BB4_1009 Depth=2
	s_and_saveexec_b32 s19, s6
	s_cbranch_execz .LBB4_1048
; %bb.1036:                             ;   in Loop: Header=BB4_1009 Depth=2
	s_mov_b32 s21, exec_lo
	s_mov_b32 s20, exec_lo
	v_mbcnt_lo_u32_b32 v9, s21, 0
	global_wb scope:SCOPE_DEV
	s_wait_storecnt 0x0
	s_wait_loadcnt_dscnt 0x0
	global_inv scope:SCOPE_DEV
	v_cmpx_eq_u32_e32 0, v9
	s_cbranch_execz .LBB4_1038
; %bb.1037:                             ;   in Loop: Header=BB4_1009 Depth=2
	s_bcnt1_i32_b32 s21, s21
	s_delay_alu instid0(SALU_CYCLE_1)
	v_dual_mov_b32 v13, v2 :: v_dual_mov_b32 v12, s21
	s_wait_loadcnt 0x0
	ds_add_u64 v0, v[12:13]
	s_trap 2
.LBB4_1038:                             ;   in Loop: Header=BB4_1009 Depth=2
	s_or_b32 exec_lo, exec_lo, s20
	s_trap 2
	ds_load_b64 v[12:13], v0
	s_wait_dscnt 0x0
	v_add_nc_u64_e32 v[48:49], v[48:49], v[52:53]
	s_mov_b32 s20, exec_lo
	s_delay_alu instid0(VALU_DEP_1)
	v_cmpx_lt_u64_e64 v[12:13], v[48:49]
	s_cbranch_execz .LBB4_1047
; %bb.1039:                             ;   in Loop: Header=BB4_1009 Depth=2
	s_mov_b32 s21, 0
	s_mov_b32 s72, 0
                                        ; implicit-def: $sgpr24
                                        ; implicit-def: $sgpr43
	s_branch .LBB4_1041
.LBB4_1040:                             ;   in Loop: Header=BB4_1041 Depth=3
	s_or_b32 exec_lo, exec_lo, s74
	s_delay_alu instid0(SALU_CYCLE_1) | instskip(NEXT) | instid1(SALU_CYCLE_1)
	s_and_b32 s73, exec_lo, s75
	s_or_b32 s21, s73, s21
	s_and_not1_b32 s24, s24, exec_lo
	s_and_b32 s73, s43, exec_lo
	s_delay_alu instid0(SALU_CYCLE_1)
	s_or_b32 s24, s24, s73
	s_and_not1_b32 exec_lo, exec_lo, s21
	s_cbranch_execz .LBB4_1045
.LBB4_1041:                             ;   Parent Loop BB4_47 Depth=1
                                        ;     Parent Loop BB4_1009 Depth=2
                                        ; =>    This Inner Loop Header: Depth=3
	s_add_co_i32 s72, s72, 1
	s_delay_alu instid0(SALU_CYCLE_1) | instskip(SKIP_1) | instid1(SALU_CYCLE_1)
	s_cmp_lg_u32 s72, 0x2710
	s_cselect_b32 s73, -1, 0
	s_and_b32 vcc_lo, exec_lo, s73
	s_cbranch_vccz .LBB4_1043
; %bb.1042:                             ;   in Loop: Header=BB4_1041 Depth=3
	s_mov_b32 s75, -1
	s_or_b32 s43, s43, exec_lo
	s_and_saveexec_b32 s74, s73
	s_cbranch_execz .LBB4_1040
	s_branch .LBB4_1044
.LBB4_1043:                             ;   in Loop: Header=BB4_1041 Depth=3
	s_trap 2
	ds_load_b64 v[12:13], v0
	s_and_not1_b32 s73, s73, exec_lo
	s_mov_b32 s72, 0
	s_wait_loadcnt_dscnt 0x0
	flat_load_b32 v9, v[12:13] scope:SCOPE_SYS
	s_wait_loadcnt_dscnt 0x0
	global_inv scope:SCOPE_SYS
	v_cmp_eq_u32_e32 vcc_lo, 0, v9
	s_and_b32 s74, vcc_lo, exec_lo
	s_delay_alu instid0(SALU_CYCLE_1)
	s_or_b32 s73, s73, s74
	s_mov_b32 s75, -1
	s_or_b32 s43, s43, exec_lo
	s_and_saveexec_b32 s74, s73
	s_cbranch_execz .LBB4_1040
.LBB4_1044:                             ;   in Loop: Header=BB4_1041 Depth=3
	s_sleep 1
	s_trap 2
	ds_load_b64 v[12:13], v0
	s_wait_dscnt 0x0
	s_and_not1_b32 s43, s43, exec_lo
	v_cmp_ge_u64_e32 vcc_lo, v[12:13], v[48:49]
	s_or_not1_b32 s75, vcc_lo, exec_lo
	s_branch .LBB4_1040
.LBB4_1045:                             ;   in Loop: Header=BB4_1009 Depth=2
	s_or_b32 exec_lo, exec_lo, s21
	s_and_saveexec_b32 s21, s24
	s_delay_alu instid0(SALU_CYCLE_1)
	s_xor_b32 s21, exec_lo, s21
	s_cbranch_execz .LBB4_1047
; %bb.1046:                             ;   in Loop: Header=BB4_1009 Depth=2
	ds_store_b32 v0, v107
	s_trap 2
.LBB4_1047:                             ;   in Loop: Header=BB4_1009 Depth=2
	s_or_b32 exec_lo, exec_lo, s20
	;;#ASMSTART
	s_wakeup
	;;#ASMEND
.LBB4_1048:                             ;   in Loop: Header=BB4_1009 Depth=2
	s_or_b32 exec_lo, exec_lo, s19
.LBB4_1049:                             ;   in Loop: Header=BB4_1009 Depth=2
	s_and_not1_saveexec_b32 s18, s18
	s_cbranch_execz .LBB4_1051
; %bb.1050:                             ;   in Loop: Header=BB4_1009 Depth=2
	global_wb scope:SCOPE_DEV
	s_wait_storecnt 0x0
	s_wait_loadcnt_dscnt 0x0
	global_inv scope:SCOPE_DEV
	s_barrier_signal -1
	s_barrier_wait -1
.LBB4_1051:                             ;   in Loop: Header=BB4_1009 Depth=2
	s_or_b32 exec_lo, exec_lo, s18
.LBB4_1052:                             ;   in Loop: Header=BB4_1009 Depth=2
	s_delay_alu instid0(SALU_CYCLE_1) | instskip(SKIP_4) | instid1(VALU_DEP_1)
	s_or_b32 exec_lo, exec_lo, s13
	s_trap 2
	ds_load_b32 v9, v0
	v_and_b32_e32 v12, 0x4000, v30
	s_xor_b32 s13, s1, -1
	v_cmp_ne_u32_e32 vcc_lo, 0, v12
	s_and_b32 s18, s13, vcc_lo
	s_delay_alu instid0(SALU_CYCLE_1)
	s_and_saveexec_b32 s13, s18
	s_cbranch_execz .LBB4_1071
; %bb.1053:                             ;   in Loop: Header=BB4_1009 Depth=2
	s_and_saveexec_b32 s18, s3
	s_delay_alu instid0(SALU_CYCLE_1)
	s_xor_b32 s18, exec_lo, s18
	s_cbranch_execz .LBB4_1068
; %bb.1054:                             ;   in Loop: Header=BB4_1009 Depth=2
	s_and_saveexec_b32 s19, s6
	s_cbranch_execz .LBB4_1067
; %bb.1055:                             ;   in Loop: Header=BB4_1009 Depth=2
	s_mov_b32 s21, exec_lo
	s_mov_b32 s20, exec_lo
	v_mbcnt_lo_u32_b32 v12, s21, 0
	global_wb scope:SCOPE_DEV
	s_wait_storecnt 0x0
	s_wait_loadcnt_dscnt 0x0
	global_inv scope:SCOPE_DEV
	v_cmpx_eq_u32_e32 0, v12
	s_cbranch_execz .LBB4_1057
; %bb.1056:                             ;   in Loop: Header=BB4_1009 Depth=2
	s_bcnt1_i32_b32 s21, s21
	s_delay_alu instid0(SALU_CYCLE_1)
	v_dual_mov_b32 v13, v2 :: v_dual_mov_b32 v12, s21
	s_wait_loadcnt 0x0
	ds_add_u64 v0, v[12:13]
	s_trap 2
.LBB4_1057:                             ;   in Loop: Header=BB4_1009 Depth=2
	s_or_b32 exec_lo, exec_lo, s20
	s_trap 2
	ds_load_b64 v[12:13], v0
	s_wait_dscnt 0x0
	v_add_nc_u64_e32 v[48:49], v[48:49], v[52:53]
	s_mov_b32 s20, exec_lo
	s_delay_alu instid0(VALU_DEP_1)
	v_cmpx_lt_u64_e64 v[12:13], v[48:49]
	s_cbranch_execz .LBB4_1066
; %bb.1058:                             ;   in Loop: Header=BB4_1009 Depth=2
	s_mov_b32 s21, 0
	s_mov_b32 s72, 0
                                        ; implicit-def: $sgpr24
                                        ; implicit-def: $sgpr43
	s_branch .LBB4_1060
.LBB4_1059:                             ;   in Loop: Header=BB4_1060 Depth=3
	s_or_b32 exec_lo, exec_lo, s74
	s_delay_alu instid0(SALU_CYCLE_1) | instskip(NEXT) | instid1(SALU_CYCLE_1)
	s_and_b32 s73, exec_lo, s75
	s_or_b32 s21, s73, s21
	s_and_not1_b32 s24, s24, exec_lo
	s_and_b32 s73, s43, exec_lo
	s_delay_alu instid0(SALU_CYCLE_1)
	s_or_b32 s24, s24, s73
	s_and_not1_b32 exec_lo, exec_lo, s21
	s_cbranch_execz .LBB4_1064
.LBB4_1060:                             ;   Parent Loop BB4_47 Depth=1
                                        ;     Parent Loop BB4_1009 Depth=2
                                        ; =>    This Inner Loop Header: Depth=3
	s_add_co_i32 s72, s72, 1
	s_delay_alu instid0(SALU_CYCLE_1) | instskip(SKIP_1) | instid1(SALU_CYCLE_1)
	s_cmp_lg_u32 s72, 0x2710
	s_cselect_b32 s73, -1, 0
	s_and_b32 vcc_lo, exec_lo, s73
	s_cbranch_vccz .LBB4_1062
; %bb.1061:                             ;   in Loop: Header=BB4_1060 Depth=3
	s_mov_b32 s75, -1
	s_or_b32 s43, s43, exec_lo
	s_and_saveexec_b32 s74, s73
	s_cbranch_execz .LBB4_1059
	s_branch .LBB4_1063
.LBB4_1062:                             ;   in Loop: Header=BB4_1060 Depth=3
	s_trap 2
	ds_load_b64 v[12:13], v0
	s_and_not1_b32 s73, s73, exec_lo
	s_mov_b32 s72, 0
	s_wait_loadcnt_dscnt 0x0
	flat_load_b32 v12, v[12:13] scope:SCOPE_SYS
	s_wait_loadcnt_dscnt 0x0
	global_inv scope:SCOPE_SYS
	v_cmp_eq_u32_e32 vcc_lo, 0, v12
	s_and_b32 s74, vcc_lo, exec_lo
	s_delay_alu instid0(SALU_CYCLE_1)
	s_or_b32 s73, s73, s74
	s_mov_b32 s75, -1
	s_or_b32 s43, s43, exec_lo
	s_and_saveexec_b32 s74, s73
	s_cbranch_execz .LBB4_1059
.LBB4_1063:                             ;   in Loop: Header=BB4_1060 Depth=3
	s_sleep 1
	s_trap 2
	ds_load_b64 v[12:13], v0
	s_wait_dscnt 0x0
	s_and_not1_b32 s43, s43, exec_lo
	v_cmp_ge_u64_e32 vcc_lo, v[12:13], v[48:49]
	s_or_not1_b32 s75, vcc_lo, exec_lo
	s_branch .LBB4_1059
.LBB4_1064:                             ;   in Loop: Header=BB4_1009 Depth=2
	s_or_b32 exec_lo, exec_lo, s21
	s_and_saveexec_b32 s21, s24
	s_delay_alu instid0(SALU_CYCLE_1)
	s_xor_b32 s21, exec_lo, s21
	s_cbranch_execz .LBB4_1066
; %bb.1065:                             ;   in Loop: Header=BB4_1009 Depth=2
	ds_store_b32 v0, v107
	s_trap 2
.LBB4_1066:                             ;   in Loop: Header=BB4_1009 Depth=2
	s_or_b32 exec_lo, exec_lo, s20
	;;#ASMSTART
	s_wakeup
	;;#ASMEND
.LBB4_1067:                             ;   in Loop: Header=BB4_1009 Depth=2
	s_or_b32 exec_lo, exec_lo, s19
.LBB4_1068:                             ;   in Loop: Header=BB4_1009 Depth=2
	s_and_not1_saveexec_b32 s18, s18
	s_cbranch_execz .LBB4_1070
; %bb.1069:                             ;   in Loop: Header=BB4_1009 Depth=2
	global_wb scope:SCOPE_DEV
	s_wait_storecnt 0x0
	s_wait_loadcnt_dscnt 0x0
	global_inv scope:SCOPE_DEV
	s_barrier_signal -1
	s_barrier_wait -1
.LBB4_1070:                             ;   in Loop: Header=BB4_1009 Depth=2
	s_or_b32 exec_lo, exec_lo, s18
.LBB4_1071:                             ;   in Loop: Header=BB4_1009 Depth=2
	s_delay_alu instid0(SALU_CYCLE_1) | instskip(SKIP_3) | instid1(VALU_DEP_1)
	s_or_b32 exec_lo, exec_lo, s13
	s_trap 2
	ds_load_b64 v[12:13], v0
	v_sub_nc_u32_e32 v14, v3, v8
	v_min_i32_e32 v22, v22, v14
	s_wait_dscnt 0x0
	v_cmp_eq_u64_e32 vcc_lo, 0, v[12:13]
	s_cbranch_vccnz .LBB4_1079
; %bb.1072:                             ;   in Loop: Header=BB4_1009 Depth=2
	s_trap 2
	ds_load_b64 v[14:15], v0
	s_wait_dscnt 0x0
	v_cmp_eq_u64_e32 vcc_lo, 0, v[14:15]
	s_cbranch_vccnz .LBB4_1079
; %bb.1073:                             ;   in Loop: Header=BB4_1009 Depth=2
	s_mov_b32 s13, -1
	s_and_saveexec_b32 s18, s10
	s_cbranch_execz .LBB4_1075
; %bb.1074:                             ;   in Loop: Header=BB4_1009 Depth=2
	ds_load_b32 v16, v0 offset:720
	s_wait_dscnt 0x0
	v_and_b32_e32 v16, 15, v16
	s_delay_alu instid0(VALU_DEP_1)
	v_cmp_eq_u32_e32 vcc_lo, 0, v16
	s_or_not1_b32 s13, vcc_lo, exec_lo
.LBB4_1075:                             ;   in Loop: Header=BB4_1009 Depth=2
	s_or_b32 exec_lo, exec_lo, s18
	s_and_saveexec_b32 s18, s7
	s_cbranch_execz .LBB4_1077
; %bb.1076:                             ;   in Loop: Header=BB4_1009 Depth=2
	ds_load_b32 v16, v0 offset:784
	s_wait_dscnt 0x0
	v_and_b32_e32 v16, 15, v16
	s_delay_alu instid0(VALU_DEP_1) | instskip(SKIP_3) | instid1(SALU_CYCLE_1)
	v_cmp_eq_u32_e32 vcc_lo, 0, v16
	s_and_b32 s19, s13, vcc_lo
	s_and_not1_b32 s13, s13, exec_lo
	s_and_b32 s19, s19, exec_lo
	s_or_b32 s13, s13, s19
.LBB4_1077:                             ;   in Loop: Header=BB4_1009 Depth=2
	s_or_b32 exec_lo, exec_lo, s18
	v_cmp_eq_u32_e32 vcc_lo, 0, v9
	s_xor_b32 s13, s13, -1
	s_mov_b32 s19, -1
	v_cndmask_b32_e64 v16, 0, 1, s13
	v_dual_mov_b32 v116, 0 :: v_dual_cndmask_b32 v9, 0, v22
	s_delay_alu instid0(VALU_DEP_2) | instskip(NEXT) | instid1(VALU_DEP_2)
	v_cmp_ne_u32_e32 vcc_lo, 0, v16
	v_lshlrev_b32_e32 v23, 2, v9
	s_cbranch_vccz .LBB4_1084
; %bb.1078:                             ;   in Loop: Header=BB4_1009 Depth=2
	v_mov_b32_e32 v117, v0
	s_and_saveexec_b32 s13, s19
	s_cbranch_execnz .LBB4_1095
	s_branch .LBB4_1103
.LBB4_1079:                             ;   in Loop: Header=BB4_1009 Depth=2
	s_mov_b32 s13, 0
	s_and_saveexec_b32 s18, s2
	s_cbranch_execnz .LBB4_1104
.LBB4_1080:                             ;   in Loop: Header=BB4_1009 Depth=2
	s_or_b32 exec_lo, exec_lo, s18
	s_and_saveexec_b32 s18, s12
	s_delay_alu instid0(SALU_CYCLE_1)
	s_xor_b32 s18, exec_lo, s18
	s_cbranch_execz .LBB4_1122
.LBB4_1081:                             ;   in Loop: Header=BB4_1009 Depth=2
	v_and_b32_e32 v9, 16, v30
	s_delay_alu instid0(VALU_DEP_1) | instskip(SKIP_1) | instid1(SALU_CYCLE_1)
	v_cmp_ne_u32_e32 vcc_lo, 0, v9
	s_and_b32 s19, vcc_lo, s13
	s_and_saveexec_b32 s13, s19
	s_cbranch_execz .LBB4_1083
; %bb.1082:                             ;   in Loop: Header=BB4_1009 Depth=2
	global_wb scope:SCOPE_SYS
	s_wait_storecnt 0x0
	s_wait_loadcnt_dscnt 0x0
	global_inv scope:SCOPE_SYS
.LBB4_1083:                             ;   in Loop: Header=BB4_1009 Depth=2
	s_or_b32 exec_lo, exec_lo, s13
	s_and_not1_saveexec_b32 s13, s18
	s_cbranch_execz .LBB4_1141
	s_branch .LBB4_1123
.LBB4_1084:                             ;   in Loop: Header=BB4_1009 Depth=2
	s_delay_alu instid0(VALU_DEP_1) | instskip(SKIP_1) | instid1(VALU_DEP_1)
	v_ashrrev_i32_e32 v16, 31, v23
	s_mov_b32 s13, exec_lo
	v_lshrrev_b32_e32 v16, 21, v16
	s_delay_alu instid0(VALU_DEP_1) | instskip(NEXT) | instid1(VALU_DEP_1)
	v_add_nc_u32_e32 v16, v23, v16
	v_ashrrev_i32_e32 v21, 11, v16
	s_delay_alu instid0(VALU_DEP_1) | instskip(NEXT) | instid1(VALU_DEP_1)
	v_sub_nc_u32_e32 v20, v21, v106
	v_cmpx_lt_i32_e32 0, v20
	s_cbranch_execz .LBB4_1088
; %bb.1085:                             ;   in Loop: Header=BB4_1009 Depth=2
	v_mov_b64_e32 v[16:17], v[14:15]
	v_mov_b64_e32 v[18:19], v[12:13]
	s_mov_b32 s18, 0
.LBB4_1086:                             ;   Parent Loop BB4_47 Depth=1
                                        ;     Parent Loop BB4_1009 Depth=2
                                        ; =>    This Inner Loop Header: Depth=3
	s_delay_alu instid0(VALU_DEP_1)
	v_add_nc_u64_e32 v[26:27], v[84:85], v[18:19]
	v_sub_nc_u32_e32 v20, v20, v52
	v_add_nc_u64_e32 v[18:19], v[18:19], v[66:67]
	s_clause 0x3
	global_load_b128 v[116:119], v[26:27], off th:TH_LOAD_NT
	global_load_b128 v[40:43], v[26:27], off offset:512 th:TH_LOAD_NT
	global_load_b128 v[44:47], v[26:27], off offset:1024 th:TH_LOAD_NT
	;; [unrolled: 1-line block ×3, first 2 shown]
	s_wait_xcnt 0x0
	v_add_nc_u64_e32 v[26:27], v[84:85], v[16:17]
	v_cmp_gt_i32_e32 vcc_lo, 1, v20
	v_add_nc_u64_e32 v[16:17], v[16:17], v[66:67]
	s_wait_loadcnt 0x3
	global_store_b128 v[26:27], v[116:119], off th:TH_STORE_NT
	s_wait_loadcnt 0x2
	global_store_b128 v[26:27], v[40:43], off offset:512 th:TH_STORE_NT
	s_wait_loadcnt 0x1
	global_store_b128 v[26:27], v[44:47], off offset:1024 th:TH_STORE_NT
	;; [unrolled: 2-line block ×3, first 2 shown]
	s_or_b32 s18, vcc_lo, s18
	s_wait_xcnt 0x0
	s_and_not1_b32 exec_lo, exec_lo, s18
	s_cbranch_execnz .LBB4_1086
; %bb.1087:                             ;   in Loop: Header=BB4_1009 Depth=2
	s_or_b32 exec_lo, exec_lo, s18
.LBB4_1088:                             ;   in Loop: Header=BB4_1009 Depth=2
	s_delay_alu instid0(SALU_CYCLE_1) | instskip(SKIP_3) | instid1(VALU_DEP_1)
	s_or_b32 exec_lo, exec_lo, s13
	v_dual_lshlrev_b32 v18, 11, v21 :: v_dual_mov_b32 v116, 0
	s_mov_b32 s19, 0
	s_mov_b32 s18, exec_lo
                                        ; implicit-def: $vgpr117
	v_cmpx_ne_u32_e64 v23, v18
	s_cbranch_execz .LBB4_1094
; %bb.1089:                             ;   in Loop: Header=BB4_1009 Depth=2
	v_dual_lshlrev_b32 v16, 5, v20 :: v_dual_sub_nc_u32 v26, v23, v18
	s_mov_b32 s19, exec_lo
	s_delay_alu instid0(VALU_DEP_1) | instskip(NEXT) | instid1(VALU_DEP_1)
	v_dual_sub_nc_u32 v16, v105, v16 :: v_dual_ashrrev_i32 v19, 31, v26
	v_dual_ashrrev_i32 v17, 31, v16 :: v_dual_lshrrev_b32 v19, 23, v19
	s_delay_alu instid0(VALU_DEP_1) | instskip(NEXT) | instid1(VALU_DEP_1)
	v_lshrrev_b32_e32 v17, 27, v17
	v_add_nc_u32_e32 v17, v16, v17
	s_delay_alu instid0(VALU_DEP_1) | instskip(NEXT) | instid1(VALU_DEP_1)
	v_and_b32_e32 v20, 0xffffffe0, v17
	v_dual_add_nc_u32 v27, v26, v19 :: v_dual_sub_nc_u32 v19, v16, v20
	s_delay_alu instid0(VALU_DEP_1) | instskip(SKIP_1) | instid1(VALU_DEP_2)
	v_and_b32_e32 v20, 0xfffffe00, v27
	v_dual_ashrrev_i32 v17, 5, v17 :: v_dual_ashrrev_i32 v27, 9, v27
	v_dual_lshlrev_b32 v16, 4, v19 :: v_dual_sub_nc_u32 v21, v26, v20
	s_delay_alu instid0(VALU_DEP_1) | instskip(NEXT) | instid1(VALU_DEP_2)
	v_lshl_add_u32 v16, v17, 9, v16
	v_cmp_lt_i32_e32 vcc_lo, 15, v21
	s_delay_alu instid0(VALU_DEP_4) | instskip(NEXT) | instid1(VALU_DEP_1)
	v_add_co_ci_u32_e64 v27, null, 0, v27, vcc_lo
	v_dual_sub_nc_u32 v117, v26, v16 :: v_dual_sub_nc_u32 v116, v27, v17
	s_delay_alu instid0(VALU_DEP_1)
	v_cmpx_lt_i32_e32 15, v117
	s_cbranch_execz .LBB4_1093
; %bb.1090:                             ;   in Loop: Header=BB4_1009 Depth=2
	v_add_nc_u32_e32 v16, v16, v18
	s_mov_b32 s20, 0
	s_delay_alu instid0(VALU_DEP_1)
	v_ashrrev_i32_e32 v17, 31, v16
.LBB4_1091:                             ;   Parent Loop BB4_47 Depth=1
                                        ;     Parent Loop BB4_1009 Depth=2
                                        ; =>    This Inner Loop Header: Depth=3
	s_delay_alu instid0(VALU_DEP_1) | instskip(SKIP_2) | instid1(VALU_DEP_2)
	v_add_nc_u64_e32 v[26:27], v[12:13], v[16:17]
	v_sub_nc_u32_e32 v117, v117, v68
	v_sub_nc_u32_e32 v116, v116, v52
	v_cmp_gt_i32_e64 s13, 16, v117
	global_load_b128 v[40:43], v[26:27], off th:TH_LOAD_NT
	s_wait_xcnt 0x0
	v_add_nc_u64_e32 v[26:27], v[14:15], v[16:17]
	v_add_nc_u64_e32 v[16:17], v[16:17], v[68:69]
	s_or_b32 s20, s13, s20
	s_wait_loadcnt 0x0
	global_store_b128 v[26:27], v[40:43], off th:TH_STORE_NT
	s_wait_xcnt 0x0
	s_and_not1_b32 exec_lo, exec_lo, s20
	s_cbranch_execnz .LBB4_1091
; %bb.1092:                             ;   in Loop: Header=BB4_1009 Depth=2
	s_or_b32 exec_lo, exec_lo, s20
.LBB4_1093:                             ;   in Loop: Header=BB4_1009 Depth=2
	s_delay_alu instid0(SALU_CYCLE_1) | instskip(NEXT) | instid1(VALU_DEP_2)
	s_or_b32 exec_lo, exec_lo, s19
	v_cmp_lt_i32_e64 s13, 0, v116
	s_delay_alu instid0(VALU_DEP_1) | instskip(NEXT) | instid1(VALU_DEP_1)
	v_dual_cndmask_b32 v26, 0, v52, s13 :: v_dual_bitop2_b32 v16, 12, v23 bitop3:0x40
	v_dual_sub_nc_u32 v17, v21, v16 :: v_dual_cndmask_b32 v23, v21, v16, vcc_lo
	s_delay_alu instid0(VALU_DEP_1) | instskip(NEXT) | instid1(VALU_DEP_2)
	v_dual_cndmask_b32 v16, 0, v17 :: v_dual_sub_nc_u32 v17, v26, v116
	v_cmp_ne_u32_e32 vcc_lo, 0, v23
	s_delay_alu instid0(VALU_DEP_2) | instskip(NEXT) | instid1(VALU_DEP_3)
	v_add3_u32 v116, v20, v18, v16
	v_lshl_add_u32 v117, v17, 5, v19
	s_and_b32 s19, vcc_lo, exec_lo
.LBB4_1094:                             ;   in Loop: Header=BB4_1009 Depth=2
	s_or_b32 exec_lo, exec_lo, s18
	s_and_saveexec_b32 s13, s19
	s_cbranch_execz .LBB4_1103
.LBB4_1095:                             ;   in Loop: Header=BB4_1009 Depth=2
	s_delay_alu instid0(VALU_DEP_1) | instskip(SKIP_1) | instid1(VALU_DEP_1)
	v_dual_ashrrev_i32 v16, 31, v117 :: v_dual_ashrrev_i32 v17, 31, v23
	s_mov_b32 s18, exec_lo
	v_dual_lshrrev_b32 v16, 27, v16 :: v_dual_lshrrev_b32 v17, 23, v17
	s_delay_alu instid0(VALU_DEP_1) | instskip(NEXT) | instid1(VALU_DEP_1)
	v_dual_add_nc_u32 v16, v117, v16 :: v_dual_add_nc_u32 v17, v23, v17
	v_dual_ashrrev_i32 v118, 5, v16 :: v_dual_ashrrev_i32 v40, 9, v17
	s_delay_alu instid0(VALU_DEP_1) | instskip(NEXT) | instid1(VALU_DEP_1)
	v_sub_nc_u32_e32 v119, v40, v118
	v_cmpx_lt_i32_e32 0, v119
	s_cbranch_execz .LBB4_1099
; %bb.1096:                             ;   in Loop: Header=BB4_1009 Depth=2
	v_and_b32_e32 v16, 0x3fffffe0, v16
	v_mov_b64_e32 v[18:19], v[14:15]
	v_mov_b64_e32 v[20:21], v[12:13]
	s_mov_b32 s19, 0
	s_delay_alu instid0(VALU_DEP_3) | instskip(NEXT) | instid1(VALU_DEP_1)
	v_dual_lshlrev_b32 v17, 9, v118 :: v_dual_sub_nc_u32 v16, v117, v16
	v_lshlrev_b32_e32 v16, 2, v16
	s_delay_alu instid0(VALU_DEP_1) | instskip(NEXT) | instid1(VALU_DEP_1)
	v_add3_u32 v16, v16, v116, v17
	v_ashrrev_i32_e32 v17, 31, v16
.LBB4_1097:                             ;   Parent Loop BB4_47 Depth=1
                                        ;     Parent Loop BB4_1009 Depth=2
                                        ; =>    This Inner Loop Header: Depth=3
	s_delay_alu instid0(VALU_DEP_1)
	v_add_nc_u64_e32 v[26:27], v[16:17], v[20:21]
	v_sub_nc_u32_e32 v119, v119, v52
	v_add_nc_u64_e32 v[20:21], v[20:21], v[68:69]
	s_clause 0x3
	flat_load_b32 v41, v[26:27] th:TH_LOAD_NT
	flat_load_b32 v42, v[26:27] offset:128 th:TH_LOAD_NT
	flat_load_b32 v43, v[26:27] offset:256 th:TH_LOAD_NT
	;; [unrolled: 1-line block ×3, first 2 shown]
	s_wait_xcnt 0x0
	v_add_nc_u64_e32 v[26:27], v[16:17], v[18:19]
	v_cmp_gt_i32_e32 vcc_lo, 1, v119
	v_add_nc_u64_e32 v[18:19], v[18:19], v[68:69]
	s_wait_loadcnt_dscnt 0x303
	flat_store_b32 v[26:27], v41 th:TH_STORE_NT
	s_wait_loadcnt_dscnt 0x203
	flat_store_b32 v[26:27], v42 offset:128 th:TH_STORE_NT
	s_wait_loadcnt_dscnt 0x103
	flat_store_b32 v[26:27], v43 offset:256 th:TH_STORE_NT
	;; [unrolled: 2-line block ×3, first 2 shown]
	s_or_b32 s19, vcc_lo, s19
	s_wait_xcnt 0x0
	s_and_not1_b32 exec_lo, exec_lo, s19
	s_cbranch_execnz .LBB4_1097
; %bb.1098:                             ;   in Loop: Header=BB4_1009 Depth=2
	s_or_b32 exec_lo, exec_lo, s19
.LBB4_1099:                             ;   in Loop: Header=BB4_1009 Depth=2
	s_delay_alu instid0(SALU_CYCLE_1) | instskip(SKIP_1) | instid1(VALU_DEP_1)
	s_or_b32 exec_lo, exec_lo, s18
	v_lshlrev_b32_e32 v16, 9, v40
	v_cmp_ne_u32_e32 vcc_lo, v23, v16
	s_and_b32 exec_lo, exec_lo, vcc_lo
	s_cbranch_execz .LBB4_1103
; %bb.1100:                             ;   in Loop: Header=BB4_1009 Depth=2
	v_dual_lshlrev_b32 v17, 5, v118 :: v_dual_lshlrev_b32 v18, 5, v119
	s_delay_alu instid0(VALU_DEP_1) | instskip(NEXT) | instid1(VALU_DEP_1)
	v_sub_nc_u32_e32 v17, v117, v17
	v_sub_nc_u32_e32 v17, v17, v18
	s_delay_alu instid0(VALU_DEP_1) | instskip(NEXT) | instid1(VALU_DEP_1)
	v_ashrrev_i32_e32 v18, 31, v17
	v_lshrrev_b32_e32 v18, 27, v18
	s_delay_alu instid0(VALU_DEP_1) | instskip(NEXT) | instid1(VALU_DEP_1)
	v_add_nc_u32_e32 v18, v17, v18
	v_and_b32_e32 v19, 0x3fffffe0, v18
	s_delay_alu instid0(VALU_DEP_1) | instskip(NEXT) | instid1(VALU_DEP_1)
	v_dual_lshlrev_b32 v18, 2, v18 :: v_dual_sub_nc_u32 v17, v17, v19
	v_and_b32_e32 v18, 0xffffff80, v18
	s_delay_alu instid0(VALU_DEP_2) | instskip(NEXT) | instid1(VALU_DEP_1)
	v_lshlrev_b32_e32 v17, 2, v17
	v_add3_u32 v16, v18, v17, v16
	s_delay_alu instid0(VALU_DEP_1) | instskip(NEXT) | instid1(VALU_DEP_1)
	v_sub_nc_u32_e32 v18, v23, v16
	v_cmp_lt_i32_e32 vcc_lo, 3, v18
	s_and_b32 exec_lo, exec_lo, vcc_lo
	s_cbranch_execz .LBB4_1103
; %bb.1101:                             ;   in Loop: Header=BB4_1009 Depth=2
	v_add_nc_u32_e32 v16, v16, v116
	s_mov_b32 s18, 0
	s_delay_alu instid0(VALU_DEP_1)
	v_ashrrev_i32_e32 v17, 31, v16
.LBB4_1102:                             ;   Parent Loop BB4_47 Depth=1
                                        ;     Parent Loop BB4_1009 Depth=2
                                        ; =>    This Inner Loop Header: Depth=3
	s_delay_alu instid0(VALU_DEP_1) | instskip(SKIP_1) | instid1(VALU_DEP_1)
	v_add_nc_u64_e32 v[20:21], v[12:13], v[16:17]
	v_sub_nc_u32_e32 v18, v18, v70
	v_cmp_gt_i32_e32 vcc_lo, 4, v18
	flat_load_b32 v19, v[20:21] th:TH_LOAD_NT
	s_wait_xcnt 0x0
	v_add_nc_u64_e32 v[20:21], v[14:15], v[16:17]
	v_add_nc_u64_e32 v[16:17], v[16:17], v[70:71]
	s_or_b32 s18, vcc_lo, s18
	s_wait_loadcnt_dscnt 0x0
	flat_store_b32 v[20:21], v19 th:TH_STORE_NT
	s_wait_xcnt 0x0
	s_and_not1_b32 exec_lo, exec_lo, s18
	s_cbranch_execnz .LBB4_1102
.LBB4_1103:                             ;   in Loop: Header=BB4_1009 Depth=2
	s_or_b32 exec_lo, exec_lo, s13
	v_cmp_lt_i32_e64 s13, 0, v9
	s_and_saveexec_b32 s18, s2
	s_cbranch_execz .LBB4_1080
.LBB4_1104:                             ;   in Loop: Header=BB4_1009 Depth=2
	s_and_saveexec_b32 s19, s3
	s_delay_alu instid0(SALU_CYCLE_1)
	s_xor_b32 s19, exec_lo, s19
	s_cbranch_execz .LBB4_1119
; %bb.1105:                             ;   in Loop: Header=BB4_1009 Depth=2
	s_and_saveexec_b32 s20, s6
	s_cbranch_execz .LBB4_1118
; %bb.1106:                             ;   in Loop: Header=BB4_1009 Depth=2
	s_mov_b32 s24, exec_lo
	s_mov_b32 s21, exec_lo
	v_mbcnt_lo_u32_b32 v9, s24, 0
	global_wb scope:SCOPE_DEV
	s_wait_storecnt 0x0
	s_wait_loadcnt_dscnt 0x0
	global_inv scope:SCOPE_DEV
	v_cmpx_eq_u32_e32 0, v9
	s_cbranch_execz .LBB4_1108
; %bb.1107:                             ;   in Loop: Header=BB4_1009 Depth=2
	s_bcnt1_i32_b32 s24, s24
	s_delay_alu instid0(SALU_CYCLE_1)
	v_dual_mov_b32 v13, v2 :: v_dual_mov_b32 v12, s24
	s_wait_loadcnt 0x0
	ds_add_u64 v0, v[12:13]
	s_trap 2
.LBB4_1108:                             ;   in Loop: Header=BB4_1009 Depth=2
	s_or_b32 exec_lo, exec_lo, s21
	s_trap 2
	ds_load_b64 v[12:13], v0
	s_wait_dscnt 0x0
	v_add_nc_u64_e32 v[48:49], v[48:49], v[52:53]
	s_mov_b32 s21, exec_lo
	s_delay_alu instid0(VALU_DEP_1)
	v_cmpx_lt_u64_e64 v[12:13], v[48:49]
	s_cbranch_execz .LBB4_1117
; %bb.1109:                             ;   in Loop: Header=BB4_1009 Depth=2
	s_mov_b32 s24, 0
	s_mov_b32 s73, 0
                                        ; implicit-def: $sgpr43
                                        ; implicit-def: $sgpr72
	s_branch .LBB4_1111
.LBB4_1110:                             ;   in Loop: Header=BB4_1111 Depth=3
	s_or_b32 exec_lo, exec_lo, s75
	s_delay_alu instid0(SALU_CYCLE_1) | instskip(NEXT) | instid1(SALU_CYCLE_1)
	s_and_b32 s74, exec_lo, s76
	s_or_b32 s24, s74, s24
	s_and_not1_b32 s43, s43, exec_lo
	s_and_b32 s74, s72, exec_lo
	s_delay_alu instid0(SALU_CYCLE_1)
	s_or_b32 s43, s43, s74
	s_and_not1_b32 exec_lo, exec_lo, s24
	s_cbranch_execz .LBB4_1115
.LBB4_1111:                             ;   Parent Loop BB4_47 Depth=1
                                        ;     Parent Loop BB4_1009 Depth=2
                                        ; =>    This Inner Loop Header: Depth=3
	s_add_co_i32 s73, s73, 1
	s_delay_alu instid0(SALU_CYCLE_1) | instskip(SKIP_1) | instid1(SALU_CYCLE_1)
	s_cmp_lg_u32 s73, 0x2710
	s_cselect_b32 s74, -1, 0
	s_and_b32 vcc_lo, exec_lo, s74
	s_cbranch_vccz .LBB4_1113
; %bb.1112:                             ;   in Loop: Header=BB4_1111 Depth=3
	s_mov_b32 s76, -1
	s_or_b32 s72, s72, exec_lo
	s_and_saveexec_b32 s75, s74
	s_cbranch_execz .LBB4_1110
	s_branch .LBB4_1114
.LBB4_1113:                             ;   in Loop: Header=BB4_1111 Depth=3
	s_trap 2
	ds_load_b64 v[12:13], v0
	s_and_not1_b32 s74, s74, exec_lo
	s_mov_b32 s73, 0
	s_wait_loadcnt_dscnt 0x0
	flat_load_b32 v9, v[12:13] scope:SCOPE_SYS
	s_wait_loadcnt_dscnt 0x0
	global_inv scope:SCOPE_SYS
	v_cmp_eq_u32_e32 vcc_lo, 0, v9
	s_and_b32 s75, vcc_lo, exec_lo
	s_delay_alu instid0(SALU_CYCLE_1)
	s_or_b32 s74, s74, s75
	s_mov_b32 s76, -1
	s_or_b32 s72, s72, exec_lo
	s_and_saveexec_b32 s75, s74
	s_cbranch_execz .LBB4_1110
.LBB4_1114:                             ;   in Loop: Header=BB4_1111 Depth=3
	s_sleep 1
	s_trap 2
	ds_load_b64 v[12:13], v0
	s_wait_dscnt 0x0
	s_and_not1_b32 s72, s72, exec_lo
	v_cmp_ge_u64_e32 vcc_lo, v[12:13], v[48:49]
	s_or_not1_b32 s76, vcc_lo, exec_lo
	s_branch .LBB4_1110
.LBB4_1115:                             ;   in Loop: Header=BB4_1009 Depth=2
	s_or_b32 exec_lo, exec_lo, s24
	s_and_saveexec_b32 s24, s43
	s_delay_alu instid0(SALU_CYCLE_1)
	s_xor_b32 s24, exec_lo, s24
	s_cbranch_execz .LBB4_1117
; %bb.1116:                             ;   in Loop: Header=BB4_1009 Depth=2
	ds_store_b32 v0, v107
	s_trap 2
.LBB4_1117:                             ;   in Loop: Header=BB4_1009 Depth=2
	s_or_b32 exec_lo, exec_lo, s21
	;;#ASMSTART
	s_wakeup
	;;#ASMEND
.LBB4_1118:                             ;   in Loop: Header=BB4_1009 Depth=2
	s_or_b32 exec_lo, exec_lo, s20
.LBB4_1119:                             ;   in Loop: Header=BB4_1009 Depth=2
	s_and_not1_saveexec_b32 s19, s19
	s_cbranch_execz .LBB4_1121
; %bb.1120:                             ;   in Loop: Header=BB4_1009 Depth=2
	global_wb scope:SCOPE_DEV
	s_wait_storecnt 0x0
	s_wait_loadcnt_dscnt 0x0
	global_inv scope:SCOPE_DEV
	s_barrier_signal -1
	s_barrier_wait -1
.LBB4_1121:                             ;   in Loop: Header=BB4_1009 Depth=2
	s_or_b32 exec_lo, exec_lo, s19
	s_delay_alu instid0(SALU_CYCLE_1) | instskip(SKIP_1) | instid1(SALU_CYCLE_1)
	s_or_b32 exec_lo, exec_lo, s18
	s_and_saveexec_b32 s18, s12
	s_xor_b32 s18, exec_lo, s18
	s_cbranch_execnz .LBB4_1081
.LBB4_1122:                             ;   in Loop: Header=BB4_1009 Depth=2
	s_and_not1_saveexec_b32 s13, s18
	s_cbranch_execz .LBB4_1141
.LBB4_1123:                             ;   in Loop: Header=BB4_1009 Depth=2
	s_and_saveexec_b32 s18, s3
	s_delay_alu instid0(SALU_CYCLE_1)
	s_xor_b32 s18, exec_lo, s18
	s_cbranch_execz .LBB4_1138
; %bb.1124:                             ;   in Loop: Header=BB4_1009 Depth=2
	s_and_saveexec_b32 s19, s6
	s_cbranch_execz .LBB4_1137
; %bb.1125:                             ;   in Loop: Header=BB4_1009 Depth=2
	s_mov_b32 s21, exec_lo
	s_mov_b32 s20, exec_lo
	v_mbcnt_lo_u32_b32 v9, s21, 0
	;;#ASMSTART
	s_waitcnt lgkmcnt(0) vmcnt(0)
	;;#ASMEND
	s_delay_alu instid0(VALU_DEP_1)
	v_cmpx_eq_u32_e32 0, v9
	s_cbranch_execz .LBB4_1127
; %bb.1126:                             ;   in Loop: Header=BB4_1009 Depth=2
	s_bcnt1_i32_b32 s21, s21
	s_delay_alu instid0(SALU_CYCLE_1)
	v_dual_mov_b32 v13, v2 :: v_dual_mov_b32 v12, s21
	s_wait_storecnt 0x0
	s_wait_loadcnt_dscnt 0x0
	ds_add_u64 v0, v[12:13]
	s_trap 2
.LBB4_1127:                             ;   in Loop: Header=BB4_1009 Depth=2
	s_or_b32 exec_lo, exec_lo, s20
	s_trap 2
	ds_load_b64 v[12:13], v0
	s_wait_dscnt 0x0
	v_add_nc_u64_e32 v[48:49], v[48:49], v[52:53]
	s_mov_b32 s20, exec_lo
	s_delay_alu instid0(VALU_DEP_1)
	v_cmpx_lt_u64_e64 v[12:13], v[48:49]
	s_cbranch_execz .LBB4_1136
; %bb.1128:                             ;   in Loop: Header=BB4_1009 Depth=2
	s_mov_b32 s21, 0
	s_mov_b32 s72, 0
                                        ; implicit-def: $sgpr24
                                        ; implicit-def: $sgpr43
	s_branch .LBB4_1130
.LBB4_1129:                             ;   in Loop: Header=BB4_1130 Depth=3
	s_or_b32 exec_lo, exec_lo, s74
	s_delay_alu instid0(SALU_CYCLE_1) | instskip(NEXT) | instid1(SALU_CYCLE_1)
	s_and_b32 s73, exec_lo, s75
	s_or_b32 s21, s73, s21
	s_and_not1_b32 s24, s24, exec_lo
	s_and_b32 s73, s43, exec_lo
	s_delay_alu instid0(SALU_CYCLE_1)
	s_or_b32 s24, s24, s73
	s_and_not1_b32 exec_lo, exec_lo, s21
	s_cbranch_execz .LBB4_1134
.LBB4_1130:                             ;   Parent Loop BB4_47 Depth=1
                                        ;     Parent Loop BB4_1009 Depth=2
                                        ; =>    This Inner Loop Header: Depth=3
	s_add_co_i32 s72, s72, 1
	s_delay_alu instid0(SALU_CYCLE_1) | instskip(SKIP_1) | instid1(SALU_CYCLE_1)
	s_cmp_lg_u32 s72, 0x2710
	s_cselect_b32 s73, -1, 0
	s_and_b32 vcc_lo, exec_lo, s73
	s_cbranch_vccz .LBB4_1132
; %bb.1131:                             ;   in Loop: Header=BB4_1130 Depth=3
	s_mov_b32 s75, -1
	s_or_b32 s43, s43, exec_lo
	s_and_saveexec_b32 s74, s73
	s_cbranch_execz .LBB4_1129
	s_branch .LBB4_1133
.LBB4_1132:                             ;   in Loop: Header=BB4_1130 Depth=3
	s_trap 2
	ds_load_b64 v[12:13], v0
	s_and_not1_b32 s73, s73, exec_lo
	s_mov_b32 s72, 0
	s_wait_storecnt 0x0
	s_wait_loadcnt_dscnt 0x0
	flat_load_b32 v9, v[12:13] scope:SCOPE_SYS
	s_wait_loadcnt_dscnt 0x0
	global_inv scope:SCOPE_SYS
	v_cmp_eq_u32_e32 vcc_lo, 0, v9
	s_and_b32 s74, vcc_lo, exec_lo
	s_delay_alu instid0(SALU_CYCLE_1)
	s_or_b32 s73, s73, s74
	s_mov_b32 s75, -1
	s_or_b32 s43, s43, exec_lo
	s_and_saveexec_b32 s74, s73
	s_cbranch_execz .LBB4_1129
.LBB4_1133:                             ;   in Loop: Header=BB4_1130 Depth=3
	s_sleep 1
	s_trap 2
	ds_load_b64 v[12:13], v0
	s_wait_dscnt 0x0
	s_and_not1_b32 s43, s43, exec_lo
	v_cmp_ge_u64_e32 vcc_lo, v[12:13], v[48:49]
	s_or_not1_b32 s75, vcc_lo, exec_lo
	s_branch .LBB4_1129
.LBB4_1134:                             ;   in Loop: Header=BB4_1009 Depth=2
	s_or_b32 exec_lo, exec_lo, s21
	s_and_saveexec_b32 s21, s24
	s_delay_alu instid0(SALU_CYCLE_1)
	s_xor_b32 s21, exec_lo, s21
	s_cbranch_execz .LBB4_1136
; %bb.1135:                             ;   in Loop: Header=BB4_1009 Depth=2
	ds_store_b32 v0, v107
	s_trap 2
.LBB4_1136:                             ;   in Loop: Header=BB4_1009 Depth=2
	s_or_b32 exec_lo, exec_lo, s20
	;;#ASMSTART
	s_wakeup
	;;#ASMEND
.LBB4_1137:                             ;   in Loop: Header=BB4_1009 Depth=2
	s_or_b32 exec_lo, exec_lo, s19
.LBB4_1138:                             ;   in Loop: Header=BB4_1009 Depth=2
	s_and_not1_saveexec_b32 s18, s18
	s_cbranch_execz .LBB4_1140
; %bb.1139:                             ;   in Loop: Header=BB4_1009 Depth=2
	;;#ASMSTART
	s_waitcnt lgkmcnt(0) vmcnt(0)
	;;#ASMEND
	s_barrier_signal -1
	s_barrier_wait -1
.LBB4_1140:                             ;   in Loop: Header=BB4_1009 Depth=2
	s_or_b32 exec_lo, exec_lo, s18
.LBB4_1141:                             ;   in Loop: Header=BB4_1009 Depth=2
	s_delay_alu instid0(SALU_CYCLE_1) | instskip(SKIP_2) | instid1(VALU_DEP_1)
	s_or_b32 exec_lo, exec_lo, s13
	v_and_b32_e32 v9, 32, v30
	s_mov_b32 s13, exec_lo
	v_cmpx_ne_u32_e32 0, v9
	s_cbranch_execz .LBB4_1008
; %bb.1142:                             ;   in Loop: Header=BB4_1009 Depth=2
	v_add_nc_u64_e32 v[114:115], 2, v[114:115]
	global_wb scope:SCOPE_SYS
	s_wait_storecnt 0x0
	s_wait_loadcnt_dscnt 0x0
	flat_store_b64 v[32:33], v[114:115] scope:SCOPE_SYS
	s_branch .LBB4_1008
.LBB4_1143:                             ;   in Loop: Header=BB4_47 Depth=1
	s_or_b32 exec_lo, exec_lo, s15
.LBB4_1144:                             ;   in Loop: Header=BB4_47 Depth=1
	s_delay_alu instid0(SALU_CYCLE_1) | instskip(NEXT) | instid1(SALU_CYCLE_1)
	s_or_b32 exec_lo, exec_lo, s14
	s_mov_b32 s14, exec_lo
	v_cmpx_gt_i32_e32 2, v9
	s_cbranch_execz .LBB4_46
; %bb.1145:                             ;   in Loop: Header=BB4_47 Depth=1
	v_cmp_eq_u32_e64 s16, 0, v9
	s_mov_b32 s15, 0
	s_branch .LBB4_1147
.LBB4_1146:                             ;   in Loop: Header=BB4_1147 Depth=2
	s_wait_xcnt 0x0
	s_or_b32 exec_lo, exec_lo, s13
	v_add_nc_u32_e32 v8, v22, v8
	s_mov_b32 s16, 0
	s_and_not1_b32 exec_lo, exec_lo, s15
	s_cbranch_execz .LBB4_45
.LBB4_1147:                             ;   Parent Loop BB4_47 Depth=1
                                        ; =>  This Loop Header: Depth=2
                                        ;       Child Loop BB4_1153 Depth 3
                                        ;       Child Loop BB4_1177 Depth 3
	;; [unrolled: 1-line block ×3, first 2 shown]
	v_and_b32_e32 v9, 4, v30
	s_mov_b32 s17, exec_lo
	s_delay_alu instid0(VALU_DEP_1)
	v_cmpx_ne_u32_e32 0, v9
	s_cbranch_execz .LBB4_1169
; %bb.1148:                             ;   in Loop: Header=BB4_1147 Depth=2
	v_add_nc_u64_e32 v[10:11], 2, v[114:115]
	s_mov_b32 s18, exec_lo
	s_wait_loadcnt_dscnt 0x1
	s_delay_alu instid0(VALU_DEP_1)
	v_cmpx_lt_u64_e64 v[50:51], v[10:11]
	s_cbranch_execz .LBB4_1160
; %bb.1149:                             ;   in Loop: Header=BB4_1147 Depth=2
	v_and_b32_e32 v9, 64, v30
	s_mov_b32 s19, 0
	s_mov_b32 s43, 0
                                        ; implicit-def: $sgpr20
                                        ; implicit-def: $sgpr21
                                        ; implicit-def: $sgpr24
	s_delay_alu instid0(VALU_DEP_1)
	v_cmp_eq_u32_e32 vcc_lo, 0, v9
	s_branch .LBB4_1153
.LBB4_1150:                             ;   in Loop: Header=BB4_1153 Depth=3
	s_wait_loadcnt_dscnt 0x0
	v_cmp_ge_u64_e64 s13, v[50:51], v[10:11]
	s_or_b32 s74, s74, exec_lo
	s_or_not1_b32 s73, s13, exec_lo
.LBB4_1151:                             ;   in Loop: Header=BB4_1153 Depth=3
	s_or_b32 exec_lo, exec_lo, s76
	s_delay_alu instid0(SALU_CYCLE_1)
	s_and_not1_b32 s13, s24, exec_lo
	s_and_b32 s24, s74, exec_lo
	s_and_not1_b32 s21, s21, exec_lo
	s_and_b32 s73, s73, exec_lo
	s_or_b32 s24, s13, s24
	s_or_b32 s21, s21, s73
.LBB4_1152:                             ;   in Loop: Header=BB4_1153 Depth=3
	s_or_b32 exec_lo, exec_lo, s72
	s_delay_alu instid0(SALU_CYCLE_1) | instskip(NEXT) | instid1(SALU_CYCLE_1)
	s_and_b32 s13, exec_lo, s21
	s_or_b32 s19, s13, s19
	s_and_not1_b32 s13, s20, exec_lo
	s_and_b32 s20, s24, exec_lo
	s_delay_alu instid0(SALU_CYCLE_1)
	s_or_b32 s20, s13, s20
	s_and_not1_b32 exec_lo, exec_lo, s19
	s_cbranch_execz .LBB4_1157
.LBB4_1153:                             ;   Parent Loop BB4_47 Depth=1
                                        ;     Parent Loop BB4_1147 Depth=2
                                        ; =>    This Inner Loop Header: Depth=3
	s_sleep 1
	s_wait_loadcnt_dscnt 0x0
	flat_load_b64 v[50:51], v[32:33] scope:SCOPE_SYS
	s_or_b32 s24, s24, exec_lo
	s_or_b32 s21, s21, exec_lo
                                        ; implicit-def: $vgpr9
	s_wait_xcnt 0x0
	s_and_saveexec_b32 s72, vcc_lo
	s_cbranch_execz .LBB4_1152
; %bb.1154:                             ;   in Loop: Header=BB4_1153 Depth=3
	s_cmp_lt_i32 s43, 0x270f
	s_mov_b32 s73, -1
	s_cselect_b32 s75, -1, 0
	s_cmp_gt_i32 s43, 0x270e
	s_cbranch_scc0 .LBB4_1156
; %bb.1155:                             ;   in Loop: Header=BB4_1153 Depth=3
	s_trap 2
	ds_load_b64 v[12:13], v0
	s_and_not1_b32 s43, s75, exec_lo
	s_mov_b32 s74, 0
	s_wait_storecnt 0x0
	s_wait_loadcnt_dscnt 0x0
	flat_load_b32 v9, v[12:13] scope:SCOPE_SYS
	s_wait_loadcnt_dscnt 0x0
	global_inv scope:SCOPE_SYS
	v_cmp_eq_u32_e64 s13, 0, v9
	s_and_b32 s13, s13, exec_lo
	s_delay_alu instid0(SALU_CYCLE_1)
	s_or_b32 s75, s43, s13
	s_mov_b32 s43, 0
	s_and_saveexec_b32 s76, s75
	s_cbranch_execz .LBB4_1151
	s_branch .LBB4_1150
.LBB4_1156:                             ;   in Loop: Header=BB4_1153 Depth=3
	s_add_co_i32 s43, s43, 1
	s_mov_b32 s74, -1
                                        ; implicit-def: $vgpr9
	s_and_saveexec_b32 s76, s75
	s_cbranch_execz .LBB4_1151
	s_branch .LBB4_1150
.LBB4_1157:                             ;   in Loop: Header=BB4_1147 Depth=2
	s_or_b32 exec_lo, exec_lo, s19
	s_xor_b32 s13, s20, -1
	s_delay_alu instid0(SALU_CYCLE_1) | instskip(NEXT) | instid1(SALU_CYCLE_1)
	s_and_saveexec_b32 s19, s13
	s_xor_b32 s13, exec_lo, s19
	s_cbranch_execz .LBB4_1159
; %bb.1158:                             ;   in Loop: Header=BB4_1147 Depth=2
	v_or_b32_e32 v30, 64, v30
	s_wait_storecnt 0x0
	s_wait_loadcnt_dscnt 0x0
	ds_store_b32 v0, v9
	s_trap 2
.LBB4_1159:                             ;   in Loop: Header=BB4_1147 Depth=2
	s_or_b32 exec_lo, exec_lo, s13
.LBB4_1160:                             ;   in Loop: Header=BB4_1147 Depth=2
	s_delay_alu instid0(SALU_CYCLE_1)
	s_or_b32 exec_lo, exec_lo, s18
	v_and_b32_e32 v9, 0x100, v30
	v_dual_mov_b32 v13, v2 :: v_dual_bitop2_b32 v12, 7, v114 bitop3:0x40
	s_mov_b32 s13, -1
	s_mov_b32 s18, exec_lo
	;;#ASMSTART
	s_wakeup
	;;#ASMEND
                                        ; implicit-def: $vgpr14_vgpr15
	v_cmpx_ne_u32_e32 0, v9
	s_cbranch_execz .LBB4_1164
; %bb.1161:                             ;   in Loop: Header=BB4_1147 Depth=2
	v_mad_nc_u64_u32 v[16:17], v12, 24, v[6:7]
	s_mov_b32 s19, exec_lo
                                        ; implicit-def: $vgpr14_vgpr15
	flat_load_b32 v9, v[16:17]
	s_wait_loadcnt_dscnt 0x0
	v_cmp_ne_u32_e32 vcc_lo, 1, v9
	s_wait_xcnt 0x0
	v_cmpx_eq_u32_e32 1, v9
	s_cbranch_execz .LBB4_1163
; %bb.1162:                             ;   in Loop: Header=BB4_1147 Depth=2
	flat_load_b32 v14, v[16:17] offset:4 scope:SCOPE_SYS
	s_wait_loadcnt_dscnt 0x0
	v_ashrrev_i32_e32 v15, 31, v14
	s_delay_alu instid0(VALU_DEP_1)
	v_lshrrev_b64 v[14:15], 2, v[14:15]
.LBB4_1163:                             ;   in Loop: Header=BB4_1147 Depth=2
	s_wait_xcnt 0x0
	s_or_b32 exec_lo, exec_lo, s19
	s_delay_alu instid0(SALU_CYCLE_1)
	s_or_not1_b32 s13, vcc_lo, exec_lo
.LBB4_1164:                             ;   in Loop: Header=BB4_1147 Depth=2
	s_or_b32 exec_lo, exec_lo, s18
	s_and_saveexec_b32 s18, s13
; %bb.1165:                             ;   in Loop: Header=BB4_1147 Depth=2
	v_mul_u64_e32 v[14:15], v[12:13], v[34:35]
; %bb.1166:                             ;   in Loop: Header=BB4_1147 Depth=2
	s_or_b32 exec_lo, exec_lo, s18
	v_and_b32_e32 v9, 0x2000, v30
	s_delay_alu instid0(VALU_DEP_2)
	v_lshl_add_u64 v[12:13], v[14:15], 2, v[36:37]
	s_mov_b32 s13, exec_lo
	ds_store_b64 v0, v[12:13] offset:720
	v_cmpx_ne_u32_e32 0, v9
	s_cbranch_execz .LBB4_1168
; %bb.1167:                             ;   in Loop: Header=BB4_1147 Depth=2
	ds_load_b64 v[12:13], v0 offset:872
	s_wait_dscnt 0x0
	v_add_nc_u64_e32 v[12:13], 1, v[12:13]
	ds_store_b64 v0, v[12:13] offset:872
.LBB4_1168:                             ;   in Loop: Header=BB4_1147 Depth=2
	s_or_b32 exec_lo, exec_lo, s13
	v_mov_b64_e32 v[114:115], v[10:11]
.LBB4_1169:                             ;   in Loop: Header=BB4_1147 Depth=2
	s_or_b32 exec_lo, exec_lo, s17
	s_xor_b32 s13, s16, -1
	s_delay_alu instid0(SALU_CYCLE_1) | instskip(NEXT) | instid1(SALU_CYCLE_1)
	s_and_b32 s13, exec_lo, s13
	s_or_b32 s15, s13, s15
	s_and_saveexec_b32 s13, s2
	s_cbranch_execz .LBB4_1188
; %bb.1170:                             ;   in Loop: Header=BB4_1147 Depth=2
	s_and_saveexec_b32 s16, s3
	s_delay_alu instid0(SALU_CYCLE_1)
	s_xor_b32 s16, exec_lo, s16
	s_cbranch_execz .LBB4_1185
; %bb.1171:                             ;   in Loop: Header=BB4_1147 Depth=2
	s_and_saveexec_b32 s17, s6
	s_cbranch_execz .LBB4_1184
; %bb.1172:                             ;   in Loop: Header=BB4_1147 Depth=2
	s_mov_b32 s19, exec_lo
	s_mov_b32 s18, exec_lo
	v_mbcnt_lo_u32_b32 v9, s19, 0
	global_wb scope:SCOPE_DEV
	s_wait_storecnt 0x0
	s_wait_loadcnt_dscnt 0x0
	global_inv scope:SCOPE_DEV
	v_cmpx_eq_u32_e32 0, v9
	s_cbranch_execz .LBB4_1174
; %bb.1173:                             ;   in Loop: Header=BB4_1147 Depth=2
	s_bcnt1_i32_b32 s19, s19
	s_delay_alu instid0(SALU_CYCLE_1)
	v_dual_mov_b32 v11, v2 :: v_dual_mov_b32 v10, s19
	s_wait_loadcnt 0x0
	ds_add_u64 v0, v[10:11]
	s_trap 2
.LBB4_1174:                             ;   in Loop: Header=BB4_1147 Depth=2
	s_or_b32 exec_lo, exec_lo, s18
	s_trap 2
	ds_load_b64 v[10:11], v0
	s_wait_dscnt 0x0
	v_add_nc_u64_e32 v[48:49], v[48:49], v[52:53]
	s_mov_b32 s18, exec_lo
	s_delay_alu instid0(VALU_DEP_1)
	v_cmpx_lt_u64_e64 v[10:11], v[48:49]
	s_cbranch_execz .LBB4_1183
; %bb.1175:                             ;   in Loop: Header=BB4_1147 Depth=2
	s_mov_b32 s19, 0
	s_mov_b32 s24, 0
                                        ; implicit-def: $sgpr20
                                        ; implicit-def: $sgpr21
	s_branch .LBB4_1177
.LBB4_1176:                             ;   in Loop: Header=BB4_1177 Depth=3
	s_or_b32 exec_lo, exec_lo, s72
	s_delay_alu instid0(SALU_CYCLE_1) | instskip(NEXT) | instid1(SALU_CYCLE_1)
	s_and_b32 s43, exec_lo, s73
	s_or_b32 s19, s43, s19
	s_and_not1_b32 s20, s20, exec_lo
	s_and_b32 s43, s21, exec_lo
	s_delay_alu instid0(SALU_CYCLE_1)
	s_or_b32 s20, s20, s43
	s_and_not1_b32 exec_lo, exec_lo, s19
	s_cbranch_execz .LBB4_1181
.LBB4_1177:                             ;   Parent Loop BB4_47 Depth=1
                                        ;     Parent Loop BB4_1147 Depth=2
                                        ; =>    This Inner Loop Header: Depth=3
	s_add_co_i32 s24, s24, 1
	s_delay_alu instid0(SALU_CYCLE_1) | instskip(SKIP_1) | instid1(SALU_CYCLE_1)
	s_cmp_lg_u32 s24, 0x2710
	s_cselect_b32 s43, -1, 0
	s_and_b32 vcc_lo, exec_lo, s43
	s_cbranch_vccz .LBB4_1179
; %bb.1178:                             ;   in Loop: Header=BB4_1177 Depth=3
	s_mov_b32 s73, -1
	s_or_b32 s21, s21, exec_lo
	s_and_saveexec_b32 s72, s43
	s_cbranch_execz .LBB4_1176
	s_branch .LBB4_1180
.LBB4_1179:                             ;   in Loop: Header=BB4_1177 Depth=3
	s_trap 2
	ds_load_b64 v[10:11], v0
	s_and_not1_b32 s43, s43, exec_lo
	s_mov_b32 s24, 0
	s_wait_loadcnt_dscnt 0x0
	flat_load_b32 v9, v[10:11] scope:SCOPE_SYS
	s_wait_loadcnt_dscnt 0x0
	global_inv scope:SCOPE_SYS
	v_cmp_eq_u32_e32 vcc_lo, 0, v9
	s_and_b32 s72, vcc_lo, exec_lo
	s_delay_alu instid0(SALU_CYCLE_1)
	s_or_b32 s43, s43, s72
	s_mov_b32 s73, -1
	s_or_b32 s21, s21, exec_lo
	s_and_saveexec_b32 s72, s43
	s_cbranch_execz .LBB4_1176
.LBB4_1180:                             ;   in Loop: Header=BB4_1177 Depth=3
	s_sleep 1
	s_trap 2
	ds_load_b64 v[10:11], v0
	s_wait_dscnt 0x0
	s_and_not1_b32 s21, s21, exec_lo
	v_cmp_ge_u64_e32 vcc_lo, v[10:11], v[48:49]
	s_or_not1_b32 s73, vcc_lo, exec_lo
	s_branch .LBB4_1176
.LBB4_1181:                             ;   in Loop: Header=BB4_1147 Depth=2
	s_or_b32 exec_lo, exec_lo, s19
	s_and_saveexec_b32 s19, s20
	s_delay_alu instid0(SALU_CYCLE_1)
	s_xor_b32 s19, exec_lo, s19
	s_cbranch_execz .LBB4_1183
; %bb.1182:                             ;   in Loop: Header=BB4_1147 Depth=2
	ds_store_b32 v0, v107
	s_trap 2
.LBB4_1183:                             ;   in Loop: Header=BB4_1147 Depth=2
	s_or_b32 exec_lo, exec_lo, s18
	;;#ASMSTART
	s_wakeup
	;;#ASMEND
.LBB4_1184:                             ;   in Loop: Header=BB4_1147 Depth=2
	s_or_b32 exec_lo, exec_lo, s17
.LBB4_1185:                             ;   in Loop: Header=BB4_1147 Depth=2
	s_and_not1_saveexec_b32 s16, s16
	s_cbranch_execz .LBB4_1187
; %bb.1186:                             ;   in Loop: Header=BB4_1147 Depth=2
	global_wb scope:SCOPE_DEV
	s_wait_storecnt 0x0
	s_wait_loadcnt_dscnt 0x0
	global_inv scope:SCOPE_DEV
	s_barrier_signal -1
	s_barrier_wait -1
.LBB4_1187:                             ;   in Loop: Header=BB4_1147 Depth=2
	s_or_b32 exec_lo, exec_lo, s16
.LBB4_1188:                             ;   in Loop: Header=BB4_1147 Depth=2
	s_delay_alu instid0(SALU_CYCLE_1) | instskip(SKIP_1) | instid1(VALU_DEP_1)
	s_or_b32 exec_lo, exec_lo, s13
	v_sub_nc_u32_e32 v9, v3, v8
	v_min_i32_e32 v22, v22, v9
	s_and_saveexec_b32 s13, s12
	s_delay_alu instid0(SALU_CYCLE_1)
	s_xor_b32 s16, exec_lo, s13
	s_cbranch_execz .LBB4_1192
; %bb.1189:                             ;   in Loop: Header=BB4_1147 Depth=2
	s_trap 2
	ds_load_b32 v9, v0
	v_cmp_lt_i32_e32 vcc_lo, 0, v22
	s_wait_dscnt 0x0
	v_readfirstlane_b32 s13, v9
	v_and_b32_e32 v9, 16, v30
	s_cmp_eq_u32 s13, 0
	s_delay_alu instid0(VALU_DEP_1) | instskip(SKIP_1) | instid1(SALU_CYCLE_1)
	v_cmp_ne_u32_e64 s13, 0, v9
	s_cselect_b32 s17, -1, 0
	s_and_b32 s17, vcc_lo, s17
	s_delay_alu instid0(SALU_CYCLE_1) | instskip(NEXT) | instid1(SALU_CYCLE_1)
	s_and_b32 s17, s13, s17
	s_and_saveexec_b32 s13, s17
	s_cbranch_execz .LBB4_1191
; %bb.1190:                             ;   in Loop: Header=BB4_1147 Depth=2
	global_wb scope:SCOPE_SYS
	s_wait_loadcnt 0x0
	s_wait_storecnt 0x0
	global_inv scope:SCOPE_SYS
.LBB4_1191:                             ;   in Loop: Header=BB4_1147 Depth=2
	s_or_b32 exec_lo, exec_lo, s13
.LBB4_1192:                             ;   in Loop: Header=BB4_1147 Depth=2
	s_and_not1_saveexec_b32 s13, s16
	s_cbranch_execz .LBB4_1211
; %bb.1193:                             ;   in Loop: Header=BB4_1147 Depth=2
	s_and_saveexec_b32 s16, s3
	s_delay_alu instid0(SALU_CYCLE_1)
	s_xor_b32 s16, exec_lo, s16
	s_cbranch_execz .LBB4_1208
; %bb.1194:                             ;   in Loop: Header=BB4_1147 Depth=2
	s_and_saveexec_b32 s17, s6
	s_cbranch_execz .LBB4_1207
; %bb.1195:                             ;   in Loop: Header=BB4_1147 Depth=2
	s_mov_b32 s19, exec_lo
	s_mov_b32 s18, exec_lo
	v_mbcnt_lo_u32_b32 v9, s19, 0
	;;#ASMSTART
	s_waitcnt lgkmcnt(0) vmcnt(0)
	;;#ASMEND
	s_delay_alu instid0(VALU_DEP_1)
	v_cmpx_eq_u32_e32 0, v9
	s_cbranch_execz .LBB4_1197
; %bb.1196:                             ;   in Loop: Header=BB4_1147 Depth=2
	s_bcnt1_i32_b32 s19, s19
	s_delay_alu instid0(SALU_CYCLE_1)
	v_dual_mov_b32 v11, v2 :: v_dual_mov_b32 v10, s19
	s_wait_storecnt 0x0
	s_wait_loadcnt_dscnt 0x0
	ds_add_u64 v0, v[10:11]
	s_trap 2
.LBB4_1197:                             ;   in Loop: Header=BB4_1147 Depth=2
	s_or_b32 exec_lo, exec_lo, s18
	s_trap 2
	ds_load_b64 v[10:11], v0
	s_wait_dscnt 0x0
	v_add_nc_u64_e32 v[48:49], v[48:49], v[52:53]
	s_mov_b32 s18, exec_lo
	s_delay_alu instid0(VALU_DEP_1)
	v_cmpx_lt_u64_e64 v[10:11], v[48:49]
	s_cbranch_execz .LBB4_1206
; %bb.1198:                             ;   in Loop: Header=BB4_1147 Depth=2
	s_mov_b32 s19, 0
	s_mov_b32 s24, 0
                                        ; implicit-def: $sgpr20
                                        ; implicit-def: $sgpr21
	s_branch .LBB4_1200
.LBB4_1199:                             ;   in Loop: Header=BB4_1200 Depth=3
	s_or_b32 exec_lo, exec_lo, s72
	s_delay_alu instid0(SALU_CYCLE_1) | instskip(NEXT) | instid1(SALU_CYCLE_1)
	s_and_b32 s43, exec_lo, s73
	s_or_b32 s19, s43, s19
	s_and_not1_b32 s20, s20, exec_lo
	s_and_b32 s43, s21, exec_lo
	s_delay_alu instid0(SALU_CYCLE_1)
	s_or_b32 s20, s20, s43
	s_and_not1_b32 exec_lo, exec_lo, s19
	s_cbranch_execz .LBB4_1204
.LBB4_1200:                             ;   Parent Loop BB4_47 Depth=1
                                        ;     Parent Loop BB4_1147 Depth=2
                                        ; =>    This Inner Loop Header: Depth=3
	s_add_co_i32 s24, s24, 1
	s_delay_alu instid0(SALU_CYCLE_1) | instskip(SKIP_1) | instid1(SALU_CYCLE_1)
	s_cmp_lg_u32 s24, 0x2710
	s_cselect_b32 s43, -1, 0
	s_and_b32 vcc_lo, exec_lo, s43
	s_cbranch_vccz .LBB4_1202
; %bb.1201:                             ;   in Loop: Header=BB4_1200 Depth=3
	s_mov_b32 s73, -1
	s_or_b32 s21, s21, exec_lo
	s_and_saveexec_b32 s72, s43
	s_cbranch_execz .LBB4_1199
	s_branch .LBB4_1203
.LBB4_1202:                             ;   in Loop: Header=BB4_1200 Depth=3
	s_trap 2
	ds_load_b64 v[10:11], v0
	s_and_not1_b32 s43, s43, exec_lo
	s_mov_b32 s24, 0
	s_wait_storecnt 0x0
	s_wait_loadcnt_dscnt 0x0
	flat_load_b32 v9, v[10:11] scope:SCOPE_SYS
	s_wait_loadcnt_dscnt 0x0
	global_inv scope:SCOPE_SYS
	v_cmp_eq_u32_e32 vcc_lo, 0, v9
	s_and_b32 s72, vcc_lo, exec_lo
	s_delay_alu instid0(SALU_CYCLE_1)
	s_or_b32 s43, s43, s72
	s_mov_b32 s73, -1
	s_or_b32 s21, s21, exec_lo
	s_and_saveexec_b32 s72, s43
	s_cbranch_execz .LBB4_1199
.LBB4_1203:                             ;   in Loop: Header=BB4_1200 Depth=3
	s_sleep 1
	s_trap 2
	ds_load_b64 v[10:11], v0
	s_wait_dscnt 0x0
	s_and_not1_b32 s21, s21, exec_lo
	v_cmp_ge_u64_e32 vcc_lo, v[10:11], v[48:49]
	s_or_not1_b32 s73, vcc_lo, exec_lo
	s_branch .LBB4_1199
.LBB4_1204:                             ;   in Loop: Header=BB4_1147 Depth=2
	s_or_b32 exec_lo, exec_lo, s19
	s_and_saveexec_b32 s19, s20
	s_delay_alu instid0(SALU_CYCLE_1)
	s_xor_b32 s19, exec_lo, s19
	s_cbranch_execz .LBB4_1206
; %bb.1205:                             ;   in Loop: Header=BB4_1147 Depth=2
	ds_store_b32 v0, v107
	s_trap 2
.LBB4_1206:                             ;   in Loop: Header=BB4_1147 Depth=2
	s_or_b32 exec_lo, exec_lo, s18
	;;#ASMSTART
	s_wakeup
	;;#ASMEND
.LBB4_1207:                             ;   in Loop: Header=BB4_1147 Depth=2
	s_or_b32 exec_lo, exec_lo, s17
.LBB4_1208:                             ;   in Loop: Header=BB4_1147 Depth=2
	s_and_not1_saveexec_b32 s16, s16
	s_cbranch_execz .LBB4_1210
; %bb.1209:                             ;   in Loop: Header=BB4_1147 Depth=2
	;;#ASMSTART
	s_waitcnt lgkmcnt(0) vmcnt(0)
	;;#ASMEND
	s_barrier_signal -1
	s_barrier_wait -1
.LBB4_1210:                             ;   in Loop: Header=BB4_1147 Depth=2
	s_or_b32 exec_lo, exec_lo, s16
.LBB4_1211:                             ;   in Loop: Header=BB4_1147 Depth=2
	s_delay_alu instid0(SALU_CYCLE_1) | instskip(SKIP_2) | instid1(VALU_DEP_1)
	s_or_b32 exec_lo, exec_lo, s13
	v_and_b32_e32 v9, 32, v30
	s_mov_b32 s13, exec_lo
	v_cmpx_ne_u32_e32 0, v9
	s_cbranch_execz .LBB4_1146
; %bb.1212:                             ;   in Loop: Header=BB4_1147 Depth=2
	v_add_nc_u64_e32 v[114:115], 2, v[114:115]
	global_wb scope:SCOPE_SYS
	s_wait_storecnt 0x0
	s_wait_loadcnt_dscnt 0x0
	flat_store_b64 v[32:33], v[114:115] scope:SCOPE_SYS
	s_branch .LBB4_1146
.LBB4_1213:
	s_or_b32 exec_lo, exec_lo, s63
.LBB4_1214:
	s_delay_alu instid0(SALU_CYCLE_1) | instskip(SKIP_2) | instid1(VALU_DEP_1)
	s_or_b32 exec_lo, exec_lo, s47
	v_and_b32_e32 v0, 0x800, v30
	s_mov_b32 s1, exec_lo
	v_cmpx_eq_u32_e32 0, v0
	s_cbranch_execz .LBB4_1247
; %bb.1215:
	v_and_b32_e32 v0, 48, v30
	s_mov_b32 s0, exec_lo
	s_delay_alu instid0(VALU_DEP_1)
	v_cmpx_ne_u32_e32 0, v0
	s_cbranch_execz .LBB4_1217
; %bb.1216:
	flat_store_b64 v[28:29], v[114:115] offset:104
.LBB4_1217:
	s_wait_xcnt 0x0
	s_or_b32 exec_lo, exec_lo, s0
	v_and_b32_e32 v0, 0x88, v30
	s_mov_b32 s2, exec_lo
	s_delay_alu instid0(VALU_DEP_1)
	v_cmpx_eq_u32_e32 0x88, v0
	s_cbranch_execz .LBB4_1227
; %bb.1218:
	v_add_nc_u32_e32 v0, 6, v114
	s_mov_b32 s3, 0
	s_delay_alu instid0(VALU_DEP_1) | instskip(NEXT) | instid1(VALU_DEP_1)
	v_and_b32_e32 v0, 7, v0
	v_mad_nc_u64_u32 v[2:3], v0, 24, v[6:7]
	v_and_b32_e32 v0, 64, v30
	s_delay_alu instid0(VALU_DEP_1)
	v_cmp_eq_u32_e64 s0, 0, v0
	flat_load_b64 v[4:5], v[2:3] offset:8 scope:SCOPE_SYS
	s_wait_loadcnt_dscnt 0x0
	v_cmp_ne_u64_e32 vcc_lo, -1, v[4:5]
	s_and_b32 s0, vcc_lo, s0
	s_wait_xcnt 0x0
	s_and_b32 exec_lo, exec_lo, s0
	s_cbranch_execz .LBB4_1227
; %bb.1219:
	s_mov_b32 s5, 0
                                        ; implicit-def: $sgpr0
                                        ; implicit-def: $sgpr4
	s_branch .LBB4_1222
.LBB4_1220:                             ;   in Loop: Header=BB4_1222 Depth=1
	flat_load_b64 v[4:5], v[2:3] offset:8 scope:SCOPE_SYS
	s_wait_loadcnt 0x0
	s_and_not1_b32 s4, s4, exec_lo
	s_wait_dscnt 0x0
	v_cmp_eq_u64_e32 vcc_lo, -1, v[4:5]
	s_or_not1_b32 s7, vcc_lo, exec_lo
.LBB4_1221:                             ;   in Loop: Header=BB4_1222 Depth=1
	s_wait_xcnt 0x0
	s_or_b32 exec_lo, exec_lo, s10
	s_delay_alu instid0(SALU_CYCLE_1) | instskip(NEXT) | instid1(SALU_CYCLE_1)
	s_and_b32 s6, exec_lo, s7
	s_or_b32 s3, s6, s3
	s_and_not1_b32 s0, s0, exec_lo
	s_and_b32 s6, s4, exec_lo
	s_delay_alu instid0(SALU_CYCLE_1)
	s_or_b32 s0, s0, s6
	s_and_not1_b32 exec_lo, exec_lo, s3
	s_cbranch_execz .LBB4_1225
.LBB4_1222:                             ; =>This Inner Loop Header: Depth=1
	s_cmp_lt_i32 s5, 0x270f
	s_cselect_b32 s6, -1, 0
	s_delay_alu instid0(SALU_CYCLE_1)
	s_and_b32 vcc_lo, exec_lo, s6
	s_cbranch_vccnz .LBB4_1224
; %bb.1223:                             ;   in Loop: Header=BB4_1222 Depth=1
	s_trap 2
	ds_load_b64 v[4:5], v0
	s_and_not1_b32 s6, s6, exec_lo
	s_mov_b32 s5, 0
	s_wait_storecnt_dscnt 0x0
	flat_load_b32 v0, v[4:5] scope:SCOPE_SYS
	s_wait_loadcnt_dscnt 0x0
	global_inv scope:SCOPE_SYS
	v_cmp_eq_u32_e32 vcc_lo, 0, v0
	s_and_b32 s7, vcc_lo, exec_lo
	s_delay_alu instid0(SALU_CYCLE_1)
	s_or_b32 s6, s6, s7
	s_mov_b32 s7, -1
	s_or_b32 s4, s4, exec_lo
	s_wait_xcnt 0x0
	s_and_saveexec_b32 s10, s6
	s_cbranch_execz .LBB4_1221
	s_branch .LBB4_1220
.LBB4_1224:                             ;   in Loop: Header=BB4_1222 Depth=1
	s_add_co_i32 s5, s5, 1
                                        ; implicit-def: $vgpr0
	s_mov_b32 s7, -1
	s_or_b32 s4, s4, exec_lo
	s_and_saveexec_b32 s10, s6
	s_cbranch_execz .LBB4_1221
	s_branch .LBB4_1220
.LBB4_1225:
	s_or_b32 exec_lo, exec_lo, s3
	s_and_saveexec_b32 s3, s0
	s_delay_alu instid0(SALU_CYCLE_1)
	s_xor_b32 s3, exec_lo, s3
	s_cbranch_execz .LBB4_1227
; %bb.1226:
	s_wait_loadcnt 0x0
	s_wait_storecnt 0x0
	ds_store_b32 v0, v0
	s_trap 2
.LBB4_1227:
	s_or_b32 exec_lo, exec_lo, s2
	v_and_b32_e32 v0, 0x2000, v30
	s_mov_b32 s0, exec_lo
	s_delay_alu instid0(VALU_DEP_1)
	v_cmpx_ne_u32_e32 0, v0
	s_cbranch_execz .LBB4_1229
; %bb.1228:
	s_trap 2
	scratch_load_b64 v[4:5], off, s33 offset:184 th:TH_LOAD_LU ; 8-byte Folded Reload
	ds_load_b64 v[2:3], v0
	s_wait_loadcnt_dscnt 0x0
	flat_store_b64 v[4:5], v[2:3] offset:16
.LBB4_1229:
	s_wait_xcnt 0x0
	s_or_b32 exec_lo, exec_lo, s0
	v_cmp_ne_u32_e32 vcc_lo, 32, v1
	s_and_b32 exec_lo, exec_lo, vcc_lo
	s_cbranch_execz .LBB4_1247
; %bb.1230:
	s_mov_b32 s0, exec_lo
	v_cmpx_ne_u32_e64 v1, v104
	s_xor_b32 s0, exec_lo, s0
	s_cbranch_execz .LBB4_1245
; %bb.1231:
	v_and_b32_e32 v0, 31, v31
	s_mov_b32 s2, exec_lo
	s_delay_alu instid0(VALU_DEP_1)
	v_cmpx_eq_u32_e32 0, v0
	s_cbranch_execz .LBB4_1244
; %bb.1232:
	s_mov_b32 s4, exec_lo
	s_mov_b32 s3, exec_lo
	v_mbcnt_lo_u32_b32 v0, s4, 0
	global_wb scope:SCOPE_DEV
	s_wait_storecnt 0x0
	s_wait_loadcnt_dscnt 0x0
	global_inv scope:SCOPE_DEV
	v_cmpx_eq_u32_e32 0, v0
	s_cbranch_execz .LBB4_1234
; %bb.1233:
	s_bcnt1_i32_b32 s4, s4
	s_delay_alu instid0(SALU_CYCLE_1)
	v_dual_mov_b32 v3, 0 :: v_dual_mov_b32 v2, s4
	s_wait_loadcnt 0x0
	ds_add_u64 v0, v[2:3]
	s_trap 2
.LBB4_1234:
	s_or_b32 exec_lo, exec_lo, s3
	s_trap 2
	ds_load_b64 v[2:3], v0
	s_wait_dscnt 0x0
	v_dual_mov_b32 v1, 0 :: v_dual_lshrrev_b32 v0, 5, v1
	s_mov_b32 s3, exec_lo
	s_delay_alu instid0(VALU_DEP_1) | instskip(NEXT) | instid1(VALU_DEP_1)
	v_add_nc_u64_e32 v[0:1], v[48:49], v[0:1]
	v_cmpx_lt_u64_e64 v[2:3], v[0:1]
	s_cbranch_execz .LBB4_1243
; %bb.1235:
	s_mov_b32 s4, 0
	s_mov_b32 s7, 0
                                        ; implicit-def: $sgpr5
                                        ; implicit-def: $sgpr6
	s_branch .LBB4_1237
.LBB4_1236:                             ;   in Loop: Header=BB4_1237 Depth=1
	s_or_b32 exec_lo, exec_lo, s11
	s_delay_alu instid0(SALU_CYCLE_1) | instskip(NEXT) | instid1(SALU_CYCLE_1)
	s_and_b32 s10, exec_lo, s12
	s_or_b32 s4, s10, s4
	s_and_not1_b32 s5, s5, exec_lo
	s_and_b32 s10, s6, exec_lo
	s_delay_alu instid0(SALU_CYCLE_1)
	s_or_b32 s5, s5, s10
	s_and_not1_b32 exec_lo, exec_lo, s4
	s_cbranch_execz .LBB4_1241
.LBB4_1237:                             ; =>This Inner Loop Header: Depth=1
	s_add_co_i32 s7, s7, 1
	s_delay_alu instid0(SALU_CYCLE_1) | instskip(SKIP_1) | instid1(SALU_CYCLE_1)
	s_cmp_lg_u32 s7, 0x2710
	s_cselect_b32 s10, -1, 0
	s_and_b32 vcc_lo, exec_lo, s10
	s_cbranch_vccz .LBB4_1239
; %bb.1238:                             ;   in Loop: Header=BB4_1237 Depth=1
	s_mov_b32 s12, -1
	s_or_b32 s6, s6, exec_lo
	s_and_saveexec_b32 s11, s10
	s_cbranch_execz .LBB4_1236
	s_branch .LBB4_1240
.LBB4_1239:                             ;   in Loop: Header=BB4_1237 Depth=1
	s_trap 2
	ds_load_b64 v[2:3], v0
	s_and_not1_b32 s10, s10, exec_lo
	s_mov_b32 s7, 0
	s_wait_loadcnt_dscnt 0x0
	flat_load_b32 v2, v[2:3] scope:SCOPE_SYS
	s_wait_loadcnt_dscnt 0x0
	global_inv scope:SCOPE_SYS
	v_cmp_eq_u32_e32 vcc_lo, 0, v2
	s_and_b32 s11, vcc_lo, exec_lo
	s_delay_alu instid0(SALU_CYCLE_1)
	s_or_b32 s10, s10, s11
	s_mov_b32 s12, -1
	s_or_b32 s6, s6, exec_lo
	s_and_saveexec_b32 s11, s10
	s_cbranch_execz .LBB4_1236
.LBB4_1240:                             ;   in Loop: Header=BB4_1237 Depth=1
	s_sleep 1
	s_trap 2
	ds_load_b64 v[2:3], v0
	s_wait_dscnt 0x0
	s_and_not1_b32 s6, s6, exec_lo
	v_cmp_ge_u64_e32 vcc_lo, v[2:3], v[0:1]
	s_or_not1_b32 s12, vcc_lo, exec_lo
	s_branch .LBB4_1236
.LBB4_1241:
	s_or_b32 exec_lo, exec_lo, s4
	s_and_saveexec_b32 s4, s5
	s_delay_alu instid0(SALU_CYCLE_1)
	s_xor_b32 s4, exec_lo, s4
	s_cbranch_execz .LBB4_1243
; %bb.1242:
	v_mov_b32_e32 v0, 1
	ds_store_b32 v0, v0
	s_trap 2
.LBB4_1243:
	s_or_b32 exec_lo, exec_lo, s3
	;;#ASMSTART
	s_wakeup
	;;#ASMEND
.LBB4_1244:
	s_or_b32 exec_lo, exec_lo, s2
.LBB4_1245:
	s_and_not1_saveexec_b32 s0, s0
	s_cbranch_execz .LBB4_1247
; %bb.1246:
	global_wb scope:SCOPE_DEV
	s_wait_storecnt 0x0
	s_wait_loadcnt_dscnt 0x0
	global_inv scope:SCOPE_DEV
	s_barrier_signal -1
	s_barrier_wait -1
.LBB4_1247:
	s_or_b32 exec_lo, exec_lo, s1
.LBB4_1248:
	s_and_not1_saveexec_b32 s21, s46
	s_cbranch_execz .LBB4_1250
; %bb.1249:
	s_get_pc_i64 s[0:1]
	s_add_nc_u64 s[0:1], s[0:1], __PRETTY_FUNCTION__._ZN10PrimitivesIj14FuncSumPostDivIjE12FanSymmetricILi1EELi0E11ProtoSimpleILi2ELi2ELi0ELi2ELi0ELi0EELi0ELb0ELi0ELi0ELi0EEC2EiiPKiS8_PKvPvmhhhP15ncclDevWorkCollP14ncclDevWorkP2pii@rel64+4
	s_get_pc_i64 s[2:3]
	s_add_nc_u64 s[2:3], s[2:3], __assert_fail@rel64+4
	v_dual_mov_b32 v0, s0 :: v_dual_mov_b32 v1, s1
	s_swap_pc_i64 s[30:31], s[2:3]
	; divergent unreachable
.LBB4_1250:
	s_or_b32 exec_lo, exec_lo, s21
	s_clause 0x2d
	scratch_load_b32 v125, off, s33
	scratch_load_b32 v124, off, s33 offset:4
	scratch_load_b32 v123, off, s33 offset:8
	;; [unrolled: 1-line block ×45, first 2 shown]
	v_readlane_b32 s30, v126, 0
	v_readlane_b32 s31, v126, 1
	s_mov_b32 s32, s33
	s_wait_xcnt 0x0
	s_or_saveexec_b32 s0, -1
	scratch_load_b32 v126, off, s33 offset:192 ; 4-byte Folded Reload
	s_wait_xcnt 0x0
	s_mov_b32 exec_lo, s0
	s_mov_b32 s33, s79
	s_wait_loadcnt_dscnt 0x0
	s_set_pc_i64 s[30:31]
.Lfunc_end4:
	.size	_ZN12_GLOBAL__N_17runRingIj14FuncSumPostDivIjE11ProtoSimpleILi2ELi2ELi0ELi2ELi0ELi0EELi0ELi0ELi2ELi0EEEviiP15ncclDevWorkColl, .Lfunc_end4-_ZN12_GLOBAL__N_17runRingIj14FuncSumPostDivIjE11ProtoSimpleILi2ELi2ELi0ELi2ELi0ELi0EELi0ELi0ELi2ELi0EEEviiP15ncclDevWorkColl
                                        ; -- End function
	.set .L_ZN12_GLOBAL__N_17runRingIj14FuncSumPostDivIjE11ProtoSimpleILi2ELi2ELi0ELi2ELi0ELi0EELi0ELi0ELi2ELi0EEEviiP15ncclDevWorkColl.num_vgpr, max(127, .L__assert_fail.num_vgpr)
	.set .L_ZN12_GLOBAL__N_17runRingIj14FuncSumPostDivIjE11ProtoSimpleILi2ELi2ELi0ELi2ELi0ELi0EELi0ELi0ELi2ELi0EEEviiP15ncclDevWorkColl.num_agpr, max(0, .L__assert_fail.num_agpr)
	.set .L_ZN12_GLOBAL__N_17runRingIj14FuncSumPostDivIjE11ProtoSimpleILi2ELi2ELi0ELi2ELi0ELi0EELi0ELi0ELi2ELi0EEEviiP15ncclDevWorkColl.numbered_sgpr, max(80, .L__assert_fail.numbered_sgpr)
	.set .L_ZN12_GLOBAL__N_17runRingIj14FuncSumPostDivIjE11ProtoSimpleILi2ELi2ELi0ELi2ELi0ELi0EELi0ELi0ELi2ELi0EEEviiP15ncclDevWorkColl.num_named_barrier, max(0, .L__assert_fail.num_named_barrier)
	.set .L_ZN12_GLOBAL__N_17runRingIj14FuncSumPostDivIjE11ProtoSimpleILi2ELi2ELi0ELi2ELi0ELi0EELi0ELi0ELi2ELi0EEEviiP15ncclDevWorkColl.private_seg_size, 208+max(.L__assert_fail.private_seg_size)
	.set .L_ZN12_GLOBAL__N_17runRingIj14FuncSumPostDivIjE11ProtoSimpleILi2ELi2ELi0ELi2ELi0ELi0EELi0ELi0ELi2ELi0EEEviiP15ncclDevWorkColl.uses_vcc, or(1, .L__assert_fail.uses_vcc)
	.set .L_ZN12_GLOBAL__N_17runRingIj14FuncSumPostDivIjE11ProtoSimpleILi2ELi2ELi0ELi2ELi0ELi0EELi0ELi0ELi2ELi0EEEviiP15ncclDevWorkColl.uses_flat_scratch, or(1, .L__assert_fail.uses_flat_scratch)
	.set .L_ZN12_GLOBAL__N_17runRingIj14FuncSumPostDivIjE11ProtoSimpleILi2ELi2ELi0ELi2ELi0ELi0EELi0ELi0ELi2ELi0EEEviiP15ncclDevWorkColl.has_dyn_sized_stack, or(0, .L__assert_fail.has_dyn_sized_stack)
	.set .L_ZN12_GLOBAL__N_17runRingIj14FuncSumPostDivIjE11ProtoSimpleILi2ELi2ELi0ELi2ELi0ELi0EELi0ELi0ELi2ELi0EEEviiP15ncclDevWorkColl.has_recursion, or(1, .L__assert_fail.has_recursion)
	.set .L_ZN12_GLOBAL__N_17runRingIj14FuncSumPostDivIjE11ProtoSimpleILi2ELi2ELi0ELi2ELi0ELi0EELi0ELi0ELi2ELi0EEEviiP15ncclDevWorkColl.has_indirect_call, or(0, .L__assert_fail.has_indirect_call)
	.section	.AMDGPU.csdata,"",@progbits
; Function info:
; codeLenInByte = 46760
; TotalNumSgprs: 82
; NumVgprs: 127
; ScratchSize: 272
; MemoryBound: 1
	.text
	.p2align	2                               ; -- Begin function _Z54ncclDevFunc_AllReduce_RING_SIMPLE_SumPostDiv_u32_0_0_2v
	.type	_Z54ncclDevFunc_AllReduce_RING_SIMPLE_SumPostDiv_u32_0_0_2v,@function
_Z54ncclDevFunc_AllReduce_RING_SIMPLE_SumPostDiv_u32_0_0_2v: ; @_Z54ncclDevFunc_AllReduce_RING_SIMPLE_SumPostDiv_u32_0_0_2v
; %bb.0:
	s_wait_loadcnt_dscnt 0x0
	s_wait_kmcnt 0x0
	s_mov_b32 s95, s33
	s_mov_b32 s33, s32
	s_or_saveexec_b32 s0, -1
	scratch_store_b32 off, v42, s33 offset:12 ; 4-byte Folded Spill
	s_wait_xcnt 0x0
	s_mov_b32 exec_lo, s0
	s_add_co_i32 s32, s32, 32
	s_clause 0x2
	scratch_store_b32 off, v40, s33 offset:8
	; meta instruction
	scratch_store_b32 off, v41, s33 offset:4
	; meta instruction
	scratch_store_b32 off, v126, s33
	v_writelane_b32 v42, s30, 0
	v_writelane_b32 v42, s31, 1
	s_trap 2
	ds_load_b32 v0, v0
	s_wait_xcnt 0x2
	v_mov_b32_e32 v40, v31
	s_mov_b32 s90, s12
	s_mov_b64 s[88:89], s[8:9]
	s_mov_b32 s2, exec_lo
	s_wait_xcnt 0x1
	v_and_b32_e32 v41, 0x3ff, v40
	s_wait_dscnt 0x0
	s_wait_xcnt 0x0
	s_delay_alu instid0(VALU_DEP_1)
	v_cmpx_lt_i32_e64 v41, v0
	s_cbranch_execz .LBB5_5
; %bb.1:
	s_load_b32 s0, s[88:89], 0x0
	s_bfe_u32 s1, ttmp6, 0x4000c
	s_and_b32 s3, ttmp6, 15
	s_add_co_i32 s1, s1, 1
	s_getreg_b32 s4, hwreg(HW_REG_IB_STS2, 6, 4)
	s_mul_i32 s1, ttmp9, s1
	v_mov_b32_e32 v2, v41
	s_add_co_i32 s3, s3, s1
	s_cmp_eq_u32 s4, 0
                                        ; implicit-def: $vgpr3
	s_cselect_b32 s1, ttmp9, s3
	s_wait_kmcnt 0x0
	s_cmp_lt_u32 s1, s0
	s_mov_b32 s1, 0
	s_cselect_b32 s0, 12, 18
	s_delay_alu instid0(SALU_CYCLE_1)
	s_add_nc_u64 s[4:5], s[88:89], s[0:1]
	s_load_u16 s0, s[4:5], 0x0
	s_trap 2
	ds_load_b32 v1, v0
	s_wait_dscnt 0x0
	s_wait_kmcnt 0x0
	v_mul_lo_u32 v1, v1, s0
	s_branch .LBB5_3
.LBB5_2:                                ;   in Loop: Header=BB5_3 Depth=1
	s_wait_xcnt 0x0
	s_or_b32 exec_lo, exec_lo, s3
	v_dual_add_nc_u32 v2, s0, v2 :: v_dual_add_nc_u32 v3, v3, v1
	s_delay_alu instid0(VALU_DEP_1) | instskip(SKIP_1) | instid1(SALU_CYCLE_1)
	v_cmp_ge_i32_e32 vcc_lo, v2, v0
	s_or_b32 s1, vcc_lo, s1
	s_and_not1_b32 exec_lo, exec_lo, s1
	s_cbranch_execz .LBB5_5
.LBB5_3:                                ; =>This Inner Loop Header: Depth=1
	ds_load_b32 v4, v3
	s_mov_b32 s3, exec_lo
	s_wait_dscnt 0x0
	v_and_b32_e32 v4, 0x1000000, v4
	s_delay_alu instid0(VALU_DEP_1)
	v_cmpx_ne_u32_e32 0, v4
	s_cbranch_execz .LBB5_2
; %bb.4:                                ;   in Loop: Header=BB5_3 Depth=1
	ds_load_b64 v[4:5], v3 offset:104
	s_wait_dscnt 0x0
	flat_load_b64 v[4:5], v[4:5]
	s_wait_loadcnt_dscnt 0x0
	ds_store_b64 v3, v[4:5] offset:104
	s_branch .LBB5_2
.LBB5_5:
	s_or_b32 exec_lo, exec_lo, s2
	s_wait_storecnt_dscnt 0x0
	s_barrier_signal -1
	s_barrier_wait -1
	s_trap 2
	ds_load_b32 v0, v0
	s_wait_dscnt 0x0
	v_cmp_gt_i32_e32 vcc_lo, 1, v0
	s_cbranch_vccnz .LBB5_13
; %bb.6:
	s_mov_b32 s91, 0
	s_get_pc_i64 s[92:93]
	s_add_nc_u64 s[92:93], s[92:93], _ZN12_GLOBAL__N_17runRingIj14FuncSumPostDivIjE11ProtoSimpleILi2ELi2ELi0ELi2ELi0ELi0EELi0ELi0ELi2ELi0EEEviiP15ncclDevWorkColl@rel64+4
	s_branch .LBB5_8
.LBB5_7:                                ;   in Loop: Header=BB5_8 Depth=1
	s_or_b32 exec_lo, exec_lo, s94
	s_trap 2
	ds_load_b32 v0, v0
	s_add_co_i32 s91, s91, 1
	s_wait_dscnt 0x0
	v_cmp_lt_i32_e32 vcc_lo, s91, v0
	s_cbranch_vccz .LBB5_13
.LBB5_8:                                ; =>This Inner Loop Header: Depth=1
	s_trap 2
	ds_load_b32 v0, v0
	s_cmp_eq_u32 s91, 0
	s_cbranch_scc1 .LBB5_11
; %bb.9:                                ;   in Loop: Header=BB5_8 Depth=1
	s_trap 2
	s_wait_dscnt 0x0
	ds_load_b32 v1, v0
	s_wait_dscnt 0x0
	v_xor_b32_e32 v1, v1, v0
	s_delay_alu instid0(VALU_DEP_1) | instskip(NEXT) | instid1(VALU_DEP_1)
	v_and_b32_e32 v1, 0xff0000, v1
	v_cmp_eq_u32_e32 vcc_lo, 0, v1
	s_cbranch_vccnz .LBB5_11
; %bb.10:                               ;   in Loop: Header=BB5_8 Depth=1
	s_barrier_signal -1
	s_barrier_wait -1
	ds_load_b32 v0, v0
.LBB5_11:                               ;   in Loop: Header=BB5_8 Depth=1
	s_wait_dscnt 0x0
	v_lshrrev_b32_e32 v0, 11, v0
	s_mov_b32 s94, exec_lo
	s_delay_alu instid0(VALU_DEP_1) | instskip(NEXT) | instid1(VALU_DEP_1)
	v_and_b32_e32 v1, 0x1fe0, v0
	v_cmpx_lt_u32_e64 v41, v1
	s_cbranch_execz .LBB5_7
; %bb.12:                               ;   in Loop: Header=BB5_8 Depth=1
	s_mov_b64 s[0:1], src_shared_base
	v_dual_mov_b32 v31, v40 :: v_dual_mov_b32 v0, v41
	v_mov_b32_e32 v3, s1
	s_mov_b64 s[8:9], s[88:89]
	s_mov_b32 s12, s90
	s_swap_pc_i64 s[30:31], s[92:93]
	s_branch .LBB5_7
.LBB5_13:
	s_clause 0x2
	scratch_load_b32 v126, off, s33
	scratch_load_b32 v41, off, s33 offset:4
	scratch_load_b32 v40, off, s33 offset:8
	v_readlane_b32 s30, v42, 0
	v_readlane_b32 s31, v42, 1
	s_mov_b32 s32, s33
	s_wait_xcnt 0x0
	s_or_saveexec_b32 s0, -1
	scratch_load_b32 v42, off, s33 offset:12 ; 4-byte Folded Reload
	s_wait_xcnt 0x0
	s_mov_b32 exec_lo, s0
	s_mov_b32 s33, s95
	s_wait_loadcnt 0x0
	s_set_pc_i64 s[30:31]
.Lfunc_end5:
	.size	_Z54ncclDevFunc_AllReduce_RING_SIMPLE_SumPostDiv_u32_0_0_2v, .Lfunc_end5-_Z54ncclDevFunc_AllReduce_RING_SIMPLE_SumPostDiv_u32_0_0_2v
                                        ; -- End function
	.set .L_Z54ncclDevFunc_AllReduce_RING_SIMPLE_SumPostDiv_u32_0_0_2v.num_vgpr, max(127, .L_ZN12_GLOBAL__N_17runRingIj14FuncSumPostDivIjE11ProtoSimpleILi2ELi2ELi0ELi2ELi0ELi0EELi0ELi0ELi2ELi0EEEviiP15ncclDevWorkColl.num_vgpr)
	.set .L_Z54ncclDevFunc_AllReduce_RING_SIMPLE_SumPostDiv_u32_0_0_2v.num_agpr, max(0, .L_ZN12_GLOBAL__N_17runRingIj14FuncSumPostDivIjE11ProtoSimpleILi2ELi2ELi0ELi2ELi0ELi0EELi0ELi0ELi2ELi0EEEviiP15ncclDevWorkColl.num_agpr)
	.set .L_Z54ncclDevFunc_AllReduce_RING_SIMPLE_SumPostDiv_u32_0_0_2v.numbered_sgpr, max(96, .L_ZN12_GLOBAL__N_17runRingIj14FuncSumPostDivIjE11ProtoSimpleILi2ELi2ELi0ELi2ELi0ELi0EELi0ELi0ELi2ELi0EEEviiP15ncclDevWorkColl.numbered_sgpr)
	.set .L_Z54ncclDevFunc_AllReduce_RING_SIMPLE_SumPostDiv_u32_0_0_2v.num_named_barrier, max(0, .L_ZN12_GLOBAL__N_17runRingIj14FuncSumPostDivIjE11ProtoSimpleILi2ELi2ELi0ELi2ELi0ELi0EELi0ELi0ELi2ELi0EEEviiP15ncclDevWorkColl.num_named_barrier)
	.set .L_Z54ncclDevFunc_AllReduce_RING_SIMPLE_SumPostDiv_u32_0_0_2v.private_seg_size, 32+max(.L_ZN12_GLOBAL__N_17runRingIj14FuncSumPostDivIjE11ProtoSimpleILi2ELi2ELi0ELi2ELi0ELi0EELi0ELi0ELi2ELi0EEEviiP15ncclDevWorkColl.private_seg_size)
	.set .L_Z54ncclDevFunc_AllReduce_RING_SIMPLE_SumPostDiv_u32_0_0_2v.uses_vcc, or(1, .L_ZN12_GLOBAL__N_17runRingIj14FuncSumPostDivIjE11ProtoSimpleILi2ELi2ELi0ELi2ELi0ELi0EELi0ELi0ELi2ELi0EEEviiP15ncclDevWorkColl.uses_vcc)
	.set .L_Z54ncclDevFunc_AllReduce_RING_SIMPLE_SumPostDiv_u32_0_0_2v.uses_flat_scratch, or(1, .L_ZN12_GLOBAL__N_17runRingIj14FuncSumPostDivIjE11ProtoSimpleILi2ELi2ELi0ELi2ELi0ELi0EELi0ELi0ELi2ELi0EEEviiP15ncclDevWorkColl.uses_flat_scratch)
	.set .L_Z54ncclDevFunc_AllReduce_RING_SIMPLE_SumPostDiv_u32_0_0_2v.has_dyn_sized_stack, or(0, .L_ZN12_GLOBAL__N_17runRingIj14FuncSumPostDivIjE11ProtoSimpleILi2ELi2ELi0ELi2ELi0ELi0EELi0ELi0ELi2ELi0EEEviiP15ncclDevWorkColl.has_dyn_sized_stack)
	.set .L_Z54ncclDevFunc_AllReduce_RING_SIMPLE_SumPostDiv_u32_0_0_2v.has_recursion, or(1, .L_ZN12_GLOBAL__N_17runRingIj14FuncSumPostDivIjE11ProtoSimpleILi2ELi2ELi0ELi2ELi0ELi0EELi0ELi0ELi2ELi0EEEviiP15ncclDevWorkColl.has_recursion)
	.set .L_Z54ncclDevFunc_AllReduce_RING_SIMPLE_SumPostDiv_u32_0_0_2v.has_indirect_call, or(0, .L_ZN12_GLOBAL__N_17runRingIj14FuncSumPostDivIjE11ProtoSimpleILi2ELi2ELi0ELi2ELi0ELi0EELi0ELi0ELi2ELi0EEEviiP15ncclDevWorkColl.has_indirect_call)
	.section	.AMDGPU.csdata,"",@progbits
; Function info:
; codeLenInByte = 740
; TotalNumSgprs: 98
; NumVgprs: 127
; ScratchSize: 304
; MemoryBound: 0
	.text
	.p2align	2                               ; -- Begin function _ZN12_GLOBAL__N_17runRingIj14FuncSumPostDivIjE11ProtoSimpleILi2ELi2ELi0ELi4ELi0ELi0EELi0ELi0ELi4ELi0EEEviiP15ncclDevWorkColl
	.type	_ZN12_GLOBAL__N_17runRingIj14FuncSumPostDivIjE11ProtoSimpleILi2ELi2ELi0ELi4ELi0ELi0EELi0ELi0ELi4ELi0EEEviiP15ncclDevWorkColl,@function
_ZN12_GLOBAL__N_17runRingIj14FuncSumPostDivIjE11ProtoSimpleILi2ELi2ELi0ELi4ELi0ELi0EELi0ELi0ELi4ELi0EEEviiP15ncclDevWorkColl: ; @_ZN12_GLOBAL__N_17runRingIj14FuncSumPostDivIjE11ProtoSimpleILi2ELi2ELi0ELi4ELi0ELi0EELi0ELi0ELi4ELi0EEEviiP15ncclDevWorkColl
; %bb.0:
	s_wait_loadcnt_dscnt 0x0
	s_wait_kmcnt 0x0
	s_mov_b32 s79, s33
	s_mov_b32 s33, s32
	s_or_saveexec_b32 s0, -1
	scratch_store_b32 off, v125, s33 offset:232 ; 4-byte Folded Spill
	s_wait_xcnt 0x0
	s_mov_b32 exec_lo, s0
	s_addk_co_i32 s32, 0xf0
	s_clause 0x2d
	scratch_store_b32 off, v40, s33 offset:180
	; meta instruction
	scratch_store_b32 off, v41, s33 offset:176
	; meta instruction
	;; [unrolled: 2-line block ×45, first 2 shown]
	scratch_store_b32 off, v126, s33
	v_writelane_b32 v125, s30, 0
	v_writelane_b32 v125, s31, 1
	s_trap 2
	flat_load_b32 v7, v[2:3]
	ds_load_b32 v6, v0
	s_mov_b32 s0, exec_lo
                                        ; implicit-def: $vgpr14_vgpr15
                                        ; implicit-def: $vgpr4_vgpr5
                                        ; kill: killed $vgpr4_vgpr5
                                        ; implicit-def: $vgpr22_vgpr23
	s_wait_dscnt 0x0
	v_readfirstlane_b32 s22, v6
	s_wait_loadcnt 0x0
	v_and_b32_e32 v8, 0xff, v7
	s_wait_xcnt 0x0
	s_delay_alu instid0(VALU_DEP_1)
	v_cmpx_ne_u32_e64 v6, v8
	s_xor_b32 s0, exec_lo, s0
	s_cbranch_execz .LBB6_6
; %bb.1:
	v_bfe_u32 v9, v7, 8, 8
	v_not_b32_e32 v8, v8
	s_mov_b32 s1, exec_lo
                                        ; implicit-def: $vgpr14_vgpr15
                                        ; implicit-def: $vgpr4_vgpr5
                                        ; kill: killed $vgpr4_vgpr5
                                        ; implicit-def: $vgpr22_vgpr23
	s_delay_alu instid0(VALU_DEP_2)
	v_cmpx_ne_u32_e64 v6, v9
	s_xor_b32 s1, exec_lo, s1
	s_cbranch_execz .LBB6_3
; %bb.2:
	s_clause 0x1
	flat_load_b128 v[10:13], v[2:3] offset:72
	flat_load_b64 v[4:5], v[2:3] offset:96
	v_add_nc_u32_e32 v6, v6, v8
	s_wait_loadcnt_dscnt 0x101
	s_delay_alu instid0(VALU_DEP_1) | instskip(SKIP_3) | instid1(VALU_DEP_3)
	v_mad_nc_u64_u32 v[8:9], v12, v6, v[10:11]
	s_wait_loadcnt_dscnt 0x0
	v_lshrrev_b64 v[14:15], 14, v[4:5]
	v_mov_b64_e32 v[22:23], v[12:13]
	v_mad_u32 v7, v13, v6, v9
	v_ashrrev_i32_e32 v6, 31, v6
	s_delay_alu instid0(VALU_DEP_1)
	v_mad_u32 v9, v12, v6, v7
	scratch_store_b64 off, v[8:9], s33 offset:184 ; 8-byte Folded Spill
                                        ; implicit-def: $vgpr9
                                        ; implicit-def: $vgpr8
.LBB6_3:
	s_wait_xcnt 0x0
	s_and_not1_saveexec_b32 s1, s1
	s_cbranch_execz .LBB6_5
; %bb.4:
	s_clause 0x1
	flat_load_b128 v[10:13], v[2:3] offset:72
	flat_load_b128 v[22:25], v[2:3] offset:88
	s_wait_loadcnt_dscnt 0x0
	v_dual_add_nc_u32 v4, v9, v8 :: v_dual_lshrrev_b32 v14, 3, v25
	s_delay_alu instid0(VALU_DEP_1) | instskip(NEXT) | instid1(VALU_DEP_1)
	v_mad_nc_u64_u32 v[6:7], v12, v4, v[10:11]
	v_mad_u32 v5, v13, v4, v7
	v_ashrrev_i32_e32 v4, 31, v4
	s_delay_alu instid0(VALU_DEP_1)
	v_mad_u32 v7, v12, v4, v5
	scratch_store_b64 off, v[6:7], s33 offset:184 ; 8-byte Folded Spill
.LBB6_5:
	s_wait_xcnt 0x0
	s_or_b32 exec_lo, exec_lo, s1
.LBB6_6:
	s_and_not1_saveexec_b32 s0, s0
	s_cbranch_execz .LBB6_8
; %bb.7:
	s_clause 0x1
	flat_load_b64 v[4:5], v[2:3] offset:96
	flat_load_b64 v[22:23], v[2:3] offset:72
	s_wait_loadcnt_dscnt 0x101
	v_lshlrev_b64_e32 v[14:15], 7, v[4:5]
	v_mov_b64_e32 v[4:5], 0
	scratch_store_b64 off, v[4:5], s33 offset:184 ; 8-byte Folded Spill
.LBB6_8:
	s_wait_xcnt 0x0
	s_or_b32 exec_lo, exec_lo, s0
	s_trap 2
	ds_load_b64 v[4:5], v0
	s_mov_b32 s1, 0
	s_mov_b32 s2, exec_lo
	s_wait_dscnt 0x0
	v_cmp_ne_u32_e32 vcc_lo, -1, v4
	v_cndmask_b32_e64 v15, 0, 1, vcc_lo
	v_cmp_ne_u32_e32 vcc_lo, -1, v5
	s_delay_alu instid0(VALU_DEP_2) | instskip(NEXT) | instid1(VALU_DEP_1)
	v_add_co_ci_u32_e64 v8, null, 0, v15, vcc_lo
	v_lshlrev_b32_e32 v4, 1, v8
	s_delay_alu instid0(VALU_DEP_1)
	v_cmpx_le_u32_e64 v4, v1
	s_xor_b32 s46, exec_lo, s2
	s_cbranch_execz .LBB6_1248
; %bb.9:
	s_clause 0x3
	flat_load_b128 v[10:13], v[2:3] offset:16
	flat_load_b64 v[16:17], v[2:3] offset:104
	flat_load_u16 v7, v[2:3] offset:8
	flat_load_b32 v6, v[2:3] offset:4
	s_trap 2
	s_load_b32 s0, s[8:9], 0x0
	s_bfe_u32 s2, ttmp6, 0x4000c
	s_and_b32 s3, ttmp6, 15
	s_add_co_i32 s2, s2, 1
	s_getreg_b32 s4, hwreg(HW_REG_IB_STS2, 6, 4)
	s_mul_i32 s2, ttmp9, s2
	v_dual_mov_b32 v4, 0 :: v_dual_mov_b32 v30, 4
	s_add_co_i32 s3, s3, s2
	s_cmp_eq_u32 s4, 0
	s_cselect_b32 s2, ttmp9, s3
	s_wait_kmcnt 0x0
	s_cmp_lt_u32 s2, s0
	s_cselect_b32 s0, 12, 18
	s_delay_alu instid0(SALU_CYCLE_1)
	s_add_nc_u64 s[0:1], s[8:9], s[0:1]
	global_load_u16 v18, v4, s[0:1]
	s_wait_xcnt 0x0
	ds_load_b32 v4, v0
	s_mov_b32 s1, exec_lo
	s_wait_dscnt 0x0
	v_readfirstlane_b32 s6, v4
	v_cmpx_ge_u32_e64 v0, v15
	s_cbranch_execz .LBB6_19
; %bb.10:
	v_cmp_ge_u32_e64 s0, v0, v8
                                        ; implicit-def: $vgpr30
	s_and_saveexec_b32 s2, s0
	s_delay_alu instid0(SALU_CYCLE_1)
	s_xor_b32 s0, exec_lo, s2
	s_cbranch_execz .LBB6_16
; %bb.11:
	v_cndmask_b32_e64 v4, 0, 1, vcc_lo
	s_mov_b32 s2, exec_lo
	s_delay_alu instid0(VALU_DEP_1) | instskip(NEXT) | instid1(VALU_DEP_1)
	v_sub_nc_u32_e32 v4, v1, v4
	v_cmpx_ge_u32_e64 v0, v4
	s_xor_b32 s2, exec_lo, s2
; %bb.12:
                                        ; implicit-def: $vgpr8
; %bb.13:
	s_delay_alu instid0(SALU_CYCLE_1)
	s_or_saveexec_b32 s2, s2
	v_mov_b32_e32 v30, 16
	s_xor_b32 exec_lo, exec_lo, s2
; %bb.14:
	v_sub_nc_u32_e32 v4, v1, v8
	s_delay_alu instid0(VALU_DEP_1)
	v_cmp_lt_i32_e32 vcc_lo, v0, v4
	v_cndmask_b32_e64 v30, 32, 0, vcc_lo
; %bb.15:
	s_or_b32 exec_lo, exec_lo, s2
.LBB6_16:
	s_and_not1_saveexec_b32 s0, s0
; %bb.17:
	v_mov_b32_e32 v30, 8
; %bb.18:
	s_or_b32 exec_lo, exec_lo, s0
.LBB6_19:
	s_delay_alu instid0(SALU_CYCLE_1) | instskip(NEXT) | instid1(VALU_DEP_1)
	s_or_b32 exec_lo, exec_lo, s1
	v_dual_mov_b32 v19, -1 :: v_dual_bitop2_b32 v4, 36, v30 bitop3:0x40
	s_delay_alu instid0(VALU_DEP_1)
	v_cmp_ne_u32_e32 vcc_lo, 0, v4
	s_and_saveexec_b32 s0, vcc_lo
	s_cbranch_execz .LBB6_21
; %bb.20:
	s_trap 2
	ds_load_b32 v19, v0
.LBB6_21:
	s_or_b32 exec_lo, exec_lo, s0
	v_and_b32_e32 v4, 24, v30
	s_mov_b32 s1, exec_lo
	s_delay_alu instid0(VALU_DEP_1)
	v_cmpx_ne_u32_e32 0, v4
	s_cbranch_execz .LBB6_23
; %bb.22:
	s_trap 2
	s_wait_dscnt 0x0
	ds_load_b32 v19, v0
.LBB6_23:
	s_or_b32 exec_lo, exec_lo, s1
	s_wait_loadcnt 0x1
	v_lshrrev_b64 v[4:5], 31, v[6:7]
	v_mov_b64_e32 v[20:21], 0
	v_mov_b64_e32 v[6:7], 0
                                        ; implicit-def: $vgpr28
                                        ; implicit-def: $vgpr112_vgpr113
                                        ; implicit-def: $vgpr32_vgpr33
                                        ; implicit-def: $vgpr38_vgpr39
                                        ; implicit-def: $vgpr26_vgpr27
	s_delay_alu instid0(VALU_DEP_3)
	v_and_b32_e32 v29, 3, v4
                                        ; implicit-def: $vgpr4_vgpr5
                                        ; kill: killed $vgpr4_vgpr5
	s_and_saveexec_b32 s0, vcc_lo
	s_cbranch_execz .LBB6_33
; %bb.24:
	s_trap 2
	ds_load_b64 v[4:5], v0
	v_and_b32_e32 v6, 0xffff, v29
	s_wait_dscnt 0x0
	v_readfirstlane_b32 s2, v4
	v_readfirstlane_b32 s3, v5
	flat_load_b64 v[4:5], v19, s[2:3] scale_offset
	s_wait_loadcnt_dscnt 0x0
	v_mad_nc_u64_u32 v[8:9], 0xa8, v6, v[4:5]
	flat_load_b32 v4, v[8:9] offset:640
	s_wait_loadcnt_dscnt 0x0
	v_cmp_eq_u32_e32 vcc_lo, 1, v4
                                        ; implicit-def: $vgpr4_vgpr5
                                        ; kill: killed $vgpr4_vgpr5
	s_wait_xcnt 0x0
	s_and_saveexec_b32 s1, vcc_lo
	s_cbranch_execz .LBB6_26
; %bb.25:
	flat_load_b64 v[6:7], v[8:9] offset:648
	v_or_b32_e32 v30, 0x2000, v30
	s_wait_loadcnt_dscnt 0x0
	flat_load_b64 v[4:5], v[6:7]
	s_trap 2
	scratch_store_b64 off, v[6:7], s33 offset:224 ; 8-byte Folded Spill
	s_wait_loadcnt_dscnt 0x0
	ds_store_b64 v0, v[4:5]
	flat_load_b64 v[4:5], v[6:7] offset:8
	s_wait_loadcnt_dscnt 0x0
	ds_store_b64 v0, v[4:5]
	flat_load_b64 v[4:5], v[6:7] offset:16
	s_wait_loadcnt_dscnt 0x0
	ds_store_b64 v0, v[4:5]
.LBB6_26:
	s_wait_xcnt 0x0
	s_or_b32 exec_lo, exec_lo, s1
	flat_load_b64 v[4:5], v[8:9] offset:608
	s_mov_b32 s1, exec_lo
                                        ; implicit-def: $vgpr26_vgpr27
	s_wait_loadcnt_dscnt 0x0
	v_add_nc_u64_e32 v[112:113], 3, v[4:5]
	v_and_b32_e32 v4, 32, v30
	s_delay_alu instid0(VALU_DEP_2) | instskip(SKIP_1) | instid1(VALU_DEP_2)
	v_and_b32_e32 v112, -4, v112
	s_wait_xcnt 0x0
	v_cmpx_ne_u32_e32 0, v4
	s_cbranch_execz .LBB6_28
; %bb.27:
	flat_load_b64 v[26:27], v[8:9] offset:560
	global_wb scope:SCOPE_SYS
	s_wait_storecnt 0x0
	s_wait_xcnt 0x0
	s_wait_loadcnt_dscnt 0x0
	flat_store_b64 v[26:27], v[112:113] scope:SCOPE_SYS
.LBB6_28:
	s_wait_xcnt 0x0
	s_or_b32 exec_lo, exec_lo, s1
	v_add_nc_u64_e32 v[20:21], 0x1f8, v[8:9]
	v_mov_b64_e32 v[6:7], 0
	v_and_b32_e32 v4, 4, v30
	s_mov_b32 s1, exec_lo
                                        ; implicit-def: $vgpr28
                                        ; implicit-def: $vgpr32_vgpr33
                                        ; implicit-def: $vgpr38_vgpr39
	s_delay_alu instid0(VALU_DEP_1)
	v_cmpx_ne_u32_e32 0, v4
	s_cbranch_execz .LBB6_32
; %bb.29:
	v_and_b32_e32 v4, 0x800, v30
	s_mov_b32 s2, exec_lo
	s_delay_alu instid0(VALU_DEP_1)
	v_cmpx_eq_u32_e32 0, v4
	s_cbranch_execz .LBB6_31
; %bb.30:
	s_trap 2
	ds_store_b64 v0, v[20:21]
.LBB6_31:
	s_or_b32 exec_lo, exec_lo, s2
	flat_load_b64 v[26:27], v[8:9] offset:552
	v_or_b32_e32 v5, 0x100, v30
	s_wait_loadcnt_dscnt 0x0
	flat_load_b64 v[38:39], v[26:27] scope:SCOPE_SYS
	s_clause 0x2
	flat_load_b32 v4, v[8:9] offset:576
	flat_load_b64 v[6:7], v[8:9] offset:600
	flat_load_b64 v[32:33], v[8:9] offset:520
	s_wait_loadcnt_dscnt 0x101
	v_cmp_eq_u64_e32 vcc_lo, 0, v[6:7]
	v_dual_ashrrev_i32 v28, 2, v4 :: v_dual_cndmask_b32 v30, v5, v30, vcc_lo
.LBB6_32:
	s_wait_xcnt 0x0
	s_or_b32 exec_lo, exec_lo, s1
.LBB6_33:
	s_delay_alu instid0(SALU_CYCLE_1) | instskip(NEXT) | instid1(VALU_DEP_1)
	s_or_b32 exec_lo, exec_lo, s0
	v_and_b32_e32 v4, 24, v30
	s_mov_b32 s0, exec_lo
                                        ; implicit-def: $vgpr34_vgpr35
	s_delay_alu instid0(VALU_DEP_1)
	v_cmpx_ne_u32_e32 0, v4
	s_cbranch_execz .LBB6_41
; %bb.34:
	s_trap 2
	ds_load_b64 v[4:5], v0
	v_and_b32_e32 v6, 0xffff, v29
	s_mov_b32 s1, exec_lo
                                        ; implicit-def: $vgpr34_vgpr35
	s_wait_dscnt 0x0
	v_readfirstlane_b32 s2, v4
	v_readfirstlane_b32 s3, v5
	flat_load_b64 v[4:5], v19, s[2:3] scale_offset
	s_wait_loadcnt_dscnt 0x0
	v_mad_nc_u64_u32 v[20:21], 0xa8, v6, v[4:5]
	v_or_b32_e32 v4, 0x100, v30
	flat_load_b128 v[6:9], v[20:21] offset:96
	s_wait_loadcnt_dscnt 0x0
	v_cmp_eq_u64_e32 vcc_lo, 0, v[6:7]
	v_cndmask_b32_e32 v30, v4, v30, vcc_lo
	s_delay_alu instid0(VALU_DEP_1) | instskip(SKIP_1) | instid1(VALU_DEP_1)
	v_and_b32_e32 v4, 16, v30
	s_wait_xcnt 0x0
	v_cmpx_ne_u32_e32 0, v4
	s_cbranch_execz .LBB6_36
; %bb.35:
	s_clause 0x2
	flat_load_b64 v[26:27], v[20:21] offset:48
	flat_load_b64 v[34:35], v[20:21] offset:120
	;; [unrolled: 1-line block ×3, first 2 shown]
.LBB6_36:
	s_wait_xcnt 0x0
	s_or_b32 exec_lo, exec_lo, s1
	v_add_nc_u64_e32 v[112:113], 3, v[8:9]
	v_and_b32_e32 v4, 8, v30
	s_mov_b32 s1, exec_lo
	s_delay_alu instid0(VALU_DEP_2) | instskip(NEXT) | instid1(VALU_DEP_2)
	v_and_b32_e32 v112, -4, v112
	v_cmpx_ne_u32_e32 0, v4
	s_cbranch_execz .LBB6_40
; %bb.37:
	v_and_b32_e32 v4, 0x800, v30
	s_mov_b32 s2, exec_lo
	s_delay_alu instid0(VALU_DEP_1)
	v_cmpx_eq_u32_e32 0, v4
	s_cbranch_execz .LBB6_39
; %bb.38:
	s_trap 2
	ds_store_b64 v0, v[20:21]
.LBB6_39:
	s_or_b32 exec_lo, exec_lo, s2
	s_wait_loadcnt_dscnt 0x202
	flat_load_b64 v[26:27], v[20:21] offset:56
	s_wait_loadcnt_dscnt 0x0
	flat_load_b64 v[38:39], v[26:27] scope:SCOPE_SYS
	s_clause 0x1
	flat_load_b32 v4, v[20:21] offset:72
	flat_load_b64 v[32:33], v[20:21] offset:16
	s_wait_loadcnt_dscnt 0x101
	v_ashrrev_i32_e32 v28, 2, v4
.LBB6_40:
	s_wait_xcnt 0x0
	s_or_b32 exec_lo, exec_lo, s1
.LBB6_41:
	s_delay_alu instid0(SALU_CYCLE_1)
	s_or_b32 exec_lo, exec_lo, s0
	v_cmp_eq_u32_e64 s0, 0, v0
	s_and_saveexec_b32 s1, s0
	s_cbranch_execz .LBB6_43
; %bb.42:
	flat_load_b64 v[4:5], v[2:3] offset:32
	v_dual_mov_b32 v8, v12 :: v_dual_mov_b32 v9, v13
	ds_store_2addr_b64 v0, v[8:9], v[10:11] offset1:1
	s_trap 2
	s_wait_loadcnt_dscnt 0x1
	ds_store_b64 v0, v[4:5]
	ds_store_b64 v0, v[16:17]
.LBB6_43:
	s_wait_xcnt 0x0
	s_or_b32 exec_lo, exec_lo, s1
	v_mov_b64_e32 v[36:37], 0
	s_wait_loadcnt 0x0
	v_and_b32_e32 v126, 0xffff, v18
	s_mov_b32 s47, exec_lo
	v_cmpx_lt_i64_e32 0, v[22:23]
	s_cbranch_execz .LBB6_1214
; %bb.44:
	flat_load_b32 v3, v[2:3] offset:4
	s_wait_xcnt 0x0
	v_dual_mov_b32 v2, 0 :: v_dual_bitop2_b32 v4, 31, v31 bitop3:0x40
	v_and_b32_e32 v102, 0xfffff80, v14
	v_mov_b32_e32 v90, 0x90
	s_ashr_i32 s23, s22, 31
	s_delay_alu instid0(VALU_DEP_3) | instskip(SKIP_3) | instid1(VALU_DEP_3)
	v_dual_mov_b32 v103, v2 :: v_dual_ashrrev_i32 v29, 31, v28
	v_lshrrev_b32_e32 v48, 5, v1
	s_ashr_i32 s7, s6, 31
	v_dual_lshlrev_b32 v5, 2, v1 :: v_dual_mov_b32 v89, 1
	v_mul_u64_e32 v[24:25], s[22:23], v[102:103]
	s_lshr_b32 s7, s7, 29
	v_dual_mov_b32 v55, v2 :: v_dual_lshlrev_b32 v64, 9, v48
	s_add_co_i32 s13, s6, s7
	s_add_co_i32 s56, s22, s22
	s_not_b32 s12, s22
	v_and_b32_e32 v68, 0x7f80, v5
	s_ashr_i32 s14, s13, 5
	s_cmp_gt_i32 s22, 0
	v_add_nc_u32_e32 v86, 0xfffffe00, v64
	s_cselect_b32 s12, s12, -1
	s_ashr_i32 s13, s13, 31
	v_add_nc_u32_e32 v96, 0xffffff80, v68
	s_lshr_b32 s13, s13, 28
	v_dual_lshrrev_b32 v88, 5, v0 :: v_dual_bitop2_b32 v124, 31, v0 bitop3:0x40
	s_add_co_i32 s40, s12, s56
	s_add_co_i32 s14, s14, s13
	s_ashr_i32 s41, s40, 31
	s_ashr_i32 s57, s14, 4
	s_cmp_gt_i32 s22, 2
	v_ashrrev_i32_e32 v97, 31, v96
	v_mov_b32_e32 v91, 0x88
	v_cmp_eq_u32_e64 s6, 0, v4
	v_lshlrev_b32_e32 v4, 4, v124
	s_cselect_b32 s58, -1, 0
	s_add_co_i32 s13, s22, 1
	scratch_store_b64 off, v[20:21], s33 offset:216 ; 8-byte Folded Spill
	v_cmp_ge_u32_e32 vcc_lo, v0, v1
	s_wait_xcnt 0x0
	v_mov_b64_e32 v[20:21], 0
	s_wait_dscnt 0x2
	v_cmp_eq_u64_e64 s4, 0, v[34:35]
	v_cmp_ne_u64_e64 s5, 0, v[34:35]
	v_mov_b64_e32 v[84:85], 0
	v_mov_b64_e32 v[36:37], 0
	v_add_nc_u64_e32 v[100:101], 0x80, v[96:97]
	v_cmp_eq_u32_e64 s1, 32, v1
	v_cmp_ne_u32_e64 s2, 32, v1
	v_cmp_ne_u32_e64 s3, v1, v126
	v_dual_mov_b32 v49, v2 :: v_dual_lshlrev_b32 v54, 12, v48
	v_cmp_eq_u32_e64 s7, 0, v124
	v_cmp_lt_u32_e64 s10, v124, v15
	v_dual_mov_b32 v65, v2 :: v_dual_lshlrev_b32 v66, 10, v48
	v_dual_mov_b32 v67, v2 :: v_dual_mov_b32 v69, v2
	v_cmp_le_u32_e64 s11, v124, v15
	v_dual_mov_b32 v71, v2 :: v_dual_lshlrev_b32 v80, 11, v48
	v_dual_mov_b32 v81, v2 :: v_dual_mov_b32 v83, v2
	v_lshl_or_b32 v70, v88, 11, v4
	v_lshl_or_b32 v82, v88, 12, v4
	s_mov_b32 s25, 0
	s_mov_b64 s[26:27], 0xffffffff
	s_add_nc_u64 s[28:29], s[22:23], -1
	s_mov_b32 s63, 0
	s_trap 2
	s_clause 0x1
	scratch_store_b128 off, v[22:25], s33 offset:192
	scratch_store_b64 off, v[24:25], s33 offset:208
	v_ashrrev_i32_e32 v87, 31, v86
	s_delay_alu instid0(VALU_DEP_1) | instskip(SKIP_2) | instid1(VALU_DEP_1)
	v_add_nc_u64_e32 v[98:99], 0x200, v[86:87]
	s_wait_loadcnt_dscnt 0x0
	v_and_b32_e32 v3, 1, v3
	v_cmp_eq_u32_e64 s12, 1, v3
	s_xor_b32 s59, s12, -1
	s_cmp_ge_i32 s13, s22
	s_cselect_b32 s14, s22, 0
	s_add_co_i32 s60, s22, -2
	s_sub_co_i32 s44, s13, s14
	s_xor_b32 s61, vcc_lo, -1
	s_ashr_i32 s42, s23, 31
	s_sub_co_i32 s62, 0, s22
	s_ashr_i32 s45, s44, 31
	s_branch .LBB6_47
.LBB6_45:                               ;   in Loop: Header=BB6_47 Depth=1
	s_or_b32 exec_lo, exec_lo, s15
.LBB6_46:                               ;   in Loop: Header=BB6_47 Depth=1
	s_delay_alu instid0(SALU_CYCLE_1) | instskip(SKIP_2) | instid1(VALU_DEP_1)
	s_or_b32 exec_lo, exec_lo, s14
	s_wait_loadcnt 0x0
	v_add_nc_u64_e32 v[84:85], v[84:85], v[24:25]
	v_cmp_ge_i64_e32 vcc_lo, v[84:85], v[22:23]
	s_or_b32 s63, vcc_lo, s63
	s_delay_alu instid0(SALU_CYCLE_1)
	s_and_not1_b32 exec_lo, exec_lo, s63
	s_cbranch_execz .LBB6_1213
.LBB6_47:                               ; =>This Loop Header: Depth=1
                                        ;     Child Loop BB6_57 Depth 2
                                        ;       Child Loop BB6_65 Depth 3
                                        ;       Child Loop BB6_89 Depth 3
	;; [unrolled: 1-line block ×9, first 2 shown]
                                        ;     Child Loop BB6_199 Depth 2
                                        ;       Child Loop BB6_205 Depth 3
                                        ;       Child Loop BB6_229 Depth 3
	;; [unrolled: 1-line block ×3, first 2 shown]
                                        ;     Child Loop BB6_273 Depth 2
                                        ;       Child Loop BB6_276 Depth 3
                                        ;         Child Loop BB6_284 Depth 4
                                        ;         Child Loop BB6_312 Depth 4
                                        ;         Child Loop BB6_331 Depth 4
                                        ;         Child Loop BB6_357 Depth 4
                                        ;         Child Loop BB6_362 Depth 4
                                        ;         Child Loop BB6_368 Depth 4
                                        ;         Child Loop BB6_373 Depth 4
                                        ;         Child Loop BB6_382 Depth 4
                                        ;         Child Loop BB6_401 Depth 4
                                        ;       Child Loop BB6_420 Depth 3
                                        ;         Child Loop BB6_426 Depth 4
                                        ;         Child Loop BB6_454 Depth 4
	;; [unrolled: 1-line block ×3, first 2 shown]
                                        ;     Child Loop BB6_495 Depth 2
                                        ;       Child Loop BB6_503 Depth 3
                                        ;       Child Loop BB6_531 Depth 3
	;; [unrolled: 1-line block ×5, first 2 shown]
                                        ;         Child Loop BB6_578 Depth 4
                                        ;       Child Loop BB6_592 Depth 3
                                        ;       Child Loop BB6_597 Depth 3
                                        ;         Child Loop BB6_598 Depth 4
                                        ;       Child Loop BB6_610 Depth 3
                                        ;       Child Loop BB6_615 Depth 3
	;; [unrolled: 1-line block ×6, first 2 shown]
                                        ;     Child Loop BB6_676 Depth 2
                                        ;       Child Loop BB6_682 Depth 3
                                        ;       Child Loop BB6_710 Depth 3
	;; [unrolled: 1-line block ×3, first 2 shown]
                                        ;     Child Loop BB6_751 Depth 2
                                        ;       Child Loop BB6_754 Depth 3
                                        ;         Child Loop BB6_762 Depth 4
                                        ;         Child Loop BB6_790 Depth 4
                                        ;         Child Loop BB6_809 Depth 4
                                        ;         Child Loop BB6_836 Depth 4
                                        ;         Child Loop BB6_841 Depth 4
                                        ;           Child Loop BB6_842 Depth 5
                                        ;         Child Loop BB6_849 Depth 4
                                        ;         Child Loop BB6_854 Depth 4
                                        ;           Child Loop BB6_855 Depth 5
                                        ;         Child Loop BB6_867 Depth 4
                                        ;         Child Loop BB6_872 Depth 4
	;; [unrolled: 1-line block ×6, first 2 shown]
                                        ;       Child Loop BB6_931 Depth 3
                                        ;         Child Loop BB6_937 Depth 4
                                        ;         Child Loop BB6_965 Depth 4
	;; [unrolled: 1-line block ×3, first 2 shown]
                                        ;     Child Loop BB6_1009 Depth 2
                                        ;       Child Loop BB6_1017 Depth 3
                                        ;       Child Loop BB6_1041 Depth 3
	;; [unrolled: 1-line block ×9, first 2 shown]
                                        ;     Child Loop BB6_1147 Depth 2
                                        ;       Child Loop BB6_1153 Depth 3
                                        ;       Child Loop BB6_1177 Depth 3
	;; [unrolled: 1-line block ×3, first 2 shown]
	v_sub_nc_u64_e32 v[114:115], v[22:23], v[84:85]
	s_mov_b32 s16, exec_lo
	s_wait_xcnt 0x0
	s_delay_alu instid0(VALU_DEP_1)
	v_cmpx_lt_i64_e64 v[114:115], v[24:25]
	s_cbranch_execz .LBB6_53
; %bb.48:                               ;   in Loop: Header=BB6_47 Depth=1
	v_add_nc_u64_e32 v[8:9], s[28:29], v[114:115]
                                        ; implicit-def: $vgpr10_vgpr11
	s_mov_b32 s13, exec_lo
	s_delay_alu instid0(VALU_DEP_1) | instskip(NEXT) | instid1(VALU_DEP_1)
	v_or_b32_e32 v3, s23, v9
	v_cmpx_ne_u64_e32 0, v[2:3]
	s_xor_b32 s17, exec_lo, s13
	s_cbranch_execz .LBB6_50
; %bb.49:                               ;   in Loop: Header=BB6_47 Depth=1
	s_mov_b32 s43, s42
	v_dual_mov_b32 v11, v2 :: v_dual_ashrrev_i32 v4, 31, v9
	s_add_nc_u64 s[14:15], s[22:23], s[42:43]
	v_mov_b32_e32 v15, v2
	s_xor_b64 s[14:15], s[14:15], s[42:43]
	s_delay_alu instid0(VALU_DEP_2)
	v_mov_b32_e32 v5, v4
	s_cvt_f32_u32 s13, s14
	s_cvt_f32_u32 s18, s15
	s_sub_nc_u64 s[20:21], 0, s[14:15]
	v_mov_b32_e32 v19, v2
	v_add_nc_u64_e32 v[8:9], v[8:9], v[4:5]
	s_fmamk_f32 s13, s18, 0x4f800000, s13
	s_delay_alu instid0(SALU_CYCLE_3) | instskip(NEXT) | instid1(VALU_DEP_1)
	v_s_rcp_f32 s13, s13
	v_xor_b32_e32 v10, v8, v4
	s_delay_alu instid0(VALU_DEP_2) | instskip(NEXT) | instid1(TRANS32_DEP_1)
	v_xor_b32_e32 v14, v9, v4
	s_mul_f32 s13, s13, 0x5f7ffffc
	s_delay_alu instid0(SALU_CYCLE_3) | instskip(NEXT) | instid1(SALU_CYCLE_3)
	s_mul_f32 s18, s13, 0x2f800000
	s_trunc_f32 s18, s18
	s_delay_alu instid0(SALU_CYCLE_3) | instskip(SKIP_1) | instid1(SALU_CYCLE_2)
	s_fmamk_f32 s13, s18, 0xcf800000, s13
	s_cvt_u32_f32 s19, s18
	s_cvt_u32_f32 s18, s13
	s_delay_alu instid0(SALU_CYCLE_3) | instskip(NEXT) | instid1(SALU_CYCLE_1)
	s_mul_u64 s[72:73], s[20:21], s[18:19]
	s_mul_hi_u32 s75, s18, s73
	s_mul_i32 s74, s18, s73
	s_mul_hi_u32 s24, s18, s72
	s_mul_i32 s43, s19, s72
	s_add_nc_u64 s[74:75], s[24:25], s[74:75]
	s_mul_hi_u32 s13, s19, s72
	s_mul_hi_u32 s76, s19, s73
	s_add_co_u32 s24, s74, s43
	s_add_co_ci_u32 s24, s75, s13
	s_mul_i32 s72, s19, s73
	s_add_co_ci_u32 s73, s76, 0
	s_delay_alu instid0(SALU_CYCLE_1) | instskip(NEXT) | instid1(SALU_CYCLE_1)
	s_add_nc_u64 s[72:73], s[24:25], s[72:73]
	s_add_co_u32 s18, s18, s72
	s_cselect_b32 s13, -1, 0
	s_delay_alu instid0(SALU_CYCLE_1) | instskip(SKIP_1) | instid1(SALU_CYCLE_1)
	s_cmp_lg_u32 s13, 0
	s_add_co_ci_u32 s19, s19, s73
	s_mul_u64 s[20:21], s[20:21], s[18:19]
	s_delay_alu instid0(SALU_CYCLE_1)
	s_mul_hi_u32 s73, s18, s21
	s_mul_i32 s72, s18, s21
	s_mul_hi_u32 s24, s18, s20
	s_mul_i32 s43, s19, s20
	s_add_nc_u64 s[72:73], s[24:25], s[72:73]
	s_mul_hi_u32 s13, s19, s20
	s_mul_hi_u32 s74, s19, s21
	s_mul_i32 s20, s19, s21
	s_add_co_u32 s21, s72, s43
	s_add_co_ci_u32 s24, s73, s13
	s_add_co_ci_u32 s21, s74, 0
	s_delay_alu instid0(SALU_CYCLE_1) | instskip(NEXT) | instid1(SALU_CYCLE_1)
	s_add_nc_u64 s[20:21], s[24:25], s[20:21]
	s_add_co_u32 s18, s18, s20
	s_cselect_b32 s13, -1, 0
	v_mul_hi_u32 v18, v10, s18
	s_cmp_lg_u32 s13, 0
	s_add_co_ci_u32 s24, s19, s21
	s_and_b64 s[20:21], s[18:19], s[26:27]
	v_mul_u64_e32 v[12:13], s[24:25], v[10:11]
	v_mul_u64_e32 v[8:9], s[20:21], v[14:15]
	;; [unrolled: 1-line block ×3, first 2 shown]
	s_delay_alu instid0(VALU_DEP_3) | instskip(NEXT) | instid1(VALU_DEP_1)
	v_add_nc_u64_e32 v[12:13], v[18:19], v[12:13]
	v_add_co_u32 v3, vcc_lo, v12, v8
	s_delay_alu instid0(VALU_DEP_2) | instskip(NEXT) | instid1(VALU_DEP_4)
	v_add_co_ci_u32_e32 v18, vcc_lo, v13, v9, vcc_lo
	v_add_co_ci_u32_e32 v17, vcc_lo, 0, v17, vcc_lo
	s_delay_alu instid0(VALU_DEP_1) | instskip(NEXT) | instid1(VALU_DEP_1)
	v_add_nc_u64_e32 v[8:9], v[18:19], v[16:17]
	v_mul_u64_e32 v[12:13], s[14:15], v[8:9]
	s_delay_alu instid0(VALU_DEP_1) | instskip(NEXT) | instid1(VALU_DEP_2)
	v_sub_nc_u32_e32 v3, v14, v13
	v_sub_co_u32 v5, vcc_lo, v10, v12
	s_delay_alu instid0(VALU_DEP_1) | instskip(NEXT) | instid1(VALU_DEP_3)
	v_sub_co_ci_u32_e64 v14, null, v14, v13, vcc_lo
	v_subrev_co_ci_u32_e64 v3, null, s15, v3, vcc_lo
	s_delay_alu instid0(VALU_DEP_3) | instskip(SKIP_1) | instid1(VALU_DEP_3)
	v_sub_co_u32 v10, s13, v5, s14
	v_add_nc_u64_e32 v[12:13], 1, v[8:9]
	v_subrev_co_ci_u32_e64 v3, null, 0, v3, s13
	s_delay_alu instid0(VALU_DEP_3) | instskip(SKIP_1) | instid1(VALU_DEP_3)
	v_cmp_le_u32_e32 vcc_lo, s14, v10
	v_cndmask_b32_e64 v10, 0, -1, vcc_lo
	v_cmp_le_u32_e32 vcc_lo, s15, v3
	v_cndmask_b32_e64 v11, 0, -1, vcc_lo
	;; [unrolled: 2-line block ×4, first 2 shown]
	v_cmp_eq_u32_e32 vcc_lo, s15, v3
	v_cndmask_b32_e32 v3, v11, v10, vcc_lo
	v_cmp_eq_u32_e32 vcc_lo, s15, v14
	v_add_nc_u64_e32 v[10:11], 2, v[8:9]
	v_cndmask_b32_e32 v5, v15, v5, vcc_lo
	s_delay_alu instid0(VALU_DEP_4) | instskip(NEXT) | instid1(VALU_DEP_3)
	v_cmp_ne_u32_e32 vcc_lo, 0, v3
	v_cndmask_b32_e32 v3, v13, v11, vcc_lo
	s_delay_alu instid0(VALU_DEP_3) | instskip(SKIP_1) | instid1(VALU_DEP_1)
	v_cmp_ne_u32_e64 s13, 0, v5
	v_dual_cndmask_b32 v5, v12, v10, vcc_lo :: v_dual_bitop2_b32 v4, s42, v4 bitop3:0x14
	v_dual_cndmask_b32 v3, v9, v3, s13 :: v_dual_cndmask_b32 v8, v8, v5, s13
	s_delay_alu instid0(VALU_DEP_1) | instskip(NEXT) | instid1(VALU_DEP_2)
	v_dual_mov_b32 v5, v4 :: v_dual_bitop2_b32 v9, v3, v4 bitop3:0x14
	v_xor_b32_e32 v8, v8, v4
	s_delay_alu instid0(VALU_DEP_1)
	v_sub_nc_u64_e32 v[10:11], v[8:9], v[4:5]
                                        ; implicit-def: $vgpr8_vgpr9
.LBB6_50:                               ;   in Loop: Header=BB6_47 Depth=1
	s_and_not1_saveexec_b32 s13, s17
	s_cbranch_execz .LBB6_52
; %bb.51:                               ;   in Loop: Header=BB6_47 Depth=1
	v_cvt_f32_u32_e32 v3, s22
	v_mov_b32_e32 v11, v2
	s_delay_alu instid0(VALU_DEP_2) | instskip(SKIP_1) | instid1(TRANS32_DEP_1)
	v_rcp_iflag_f32_e32 v3, v3
	v_nop
	v_mul_f32_e32 v3, 0x4f7ffffe, v3
	s_delay_alu instid0(VALU_DEP_1) | instskip(NEXT) | instid1(VALU_DEP_1)
	v_cvt_u32_f32_e32 v3, v3
	v_mul_lo_u32 v4, s62, v3
	s_delay_alu instid0(VALU_DEP_1) | instskip(NEXT) | instid1(VALU_DEP_1)
	v_mul_hi_u32 v4, v3, v4
	v_add_nc_u32_e32 v3, v3, v4
	s_delay_alu instid0(VALU_DEP_1) | instskip(NEXT) | instid1(VALU_DEP_1)
	v_mul_hi_u32 v3, v8, v3
	v_mul_lo_u32 v4, v3, s22
	s_delay_alu instid0(VALU_DEP_1) | instskip(NEXT) | instid1(VALU_DEP_1)
	v_sub_nc_u32_e32 v4, v8, v4
	v_subrev_nc_u32_e32 v8, s22, v4
	v_cmp_le_u32_e32 vcc_lo, s22, v4
	s_delay_alu instid0(VALU_DEP_2) | instskip(NEXT) | instid1(VALU_DEP_1)
	v_dual_cndmask_b32 v4, v4, v8 :: v_dual_add_nc_u32 v5, 1, v3
	v_cndmask_b32_e32 v3, v3, v5, vcc_lo
	s_delay_alu instid0(VALU_DEP_2) | instskip(NEXT) | instid1(VALU_DEP_2)
	v_cmp_le_u32_e32 vcc_lo, s22, v4
	v_add_nc_u32_e32 v5, 1, v3
	s_delay_alu instid0(VALU_DEP_1)
	v_cndmask_b32_e32 v10, v3, v5, vcc_lo
.LBB6_52:                               ;   in Loop: Header=BB6_47 Depth=1
	s_or_b32 exec_lo, exec_lo, s13
	s_delay_alu instid0(VALU_DEP_1) | instskip(NEXT) | instid1(VALU_DEP_1)
	v_add_nc_u64_e32 v[102:103], 3, v[10:11]
	v_and_b32_e32 v102, -4, v102
.LBB6_53:                               ;   in Loop: Header=BB6_47 Depth=1
	s_or_b32 exec_lo, exec_lo, s16
	scratch_load_b64 v[8:9], off, s33 offset:184 ; 8-byte Folded Reload
	v_mul_u64_e32 v[12:13], s[40:41], v[102:103]
	v_mov_b32_e32 v10, 0
	s_delay_alu instid0(VALU_DEP_2) | instskip(NEXT) | instid1(VALU_DEP_1)
	v_sub_nc_u64_e32 v[4:5], v[114:115], v[12:13]
	v_min_i64 v[4:5], v[102:103], v[4:5]
	s_delay_alu instid0(VALU_DEP_1) | instskip(SKIP_1) | instid1(VALU_DEP_2)
	v_max_i32_e32 v3, 0, v4
	v_cmp_lt_i32_e32 vcc_lo, 0, v4
	v_add_nc_u32_e32 v5, 31, v3
	s_and_b32 s13, s61, vcc_lo
	s_wait_loadcnt 0x0
	v_add_nc_u64_e32 v[116:117], v[84:85], v[8:9]
	s_delay_alu instid0(VALU_DEP_2) | instskip(NEXT) | instid1(VALU_DEP_1)
	v_dual_mov_b32 v9, 0 :: v_dual_lshrrev_b32 v5, 1, v5
	v_and_b32_e32 v5, 0x3ffffff0, v5
	s_delay_alu instid0(VALU_DEP_1)
	v_max_i32_e32 v8, s57, v5
	s_wait_xcnt 0x0
	s_and_saveexec_b32 s14, s13
	s_cbranch_execz .LBB6_195
; %bb.54:                               ;   in Loop: Header=BB6_47 Depth=1
	v_mov_b32_e32 v10, 0
	s_mov_b32 s17, 1
	s_mov_b32 s16, -1
	s_mov_b32 s15, 0
	s_branch .LBB6_57
.LBB6_55:                               ;   in Loop: Header=BB6_57 Depth=2
	s_wait_xcnt 0x0
	s_or_b32 exec_lo, exec_lo, s18
	v_add_nc_u64_e32 v[112:113], 2, v[112:113]
	global_wb scope:SCOPE_SYS
	s_wait_storecnt 0x0
	s_wait_loadcnt_dscnt 0x0
	flat_store_b64 v[26:27], v[112:113] scope:SCOPE_SYS
.LBB6_56:                               ;   in Loop: Header=BB6_57 Depth=2
	s_wait_xcnt 0x0
	s_or_b32 exec_lo, exec_lo, s13
	v_dual_mov_b32 v9, s17 :: v_dual_add_nc_u32 v10, v8, v10
	s_xor_b32 s13, s16, -1
	s_mov_b32 s16, 0
	s_mov_b32 s17, 2
	s_delay_alu instid0(VALU_DEP_1) | instskip(SKIP_1) | instid1(SALU_CYCLE_1)
	v_cmp_ge_i32_e32 vcc_lo, v10, v3
	s_or_b32 s13, s13, vcc_lo
	s_and_b32 s13, exec_lo, s13
	s_delay_alu instid0(SALU_CYCLE_1) | instskip(NEXT) | instid1(SALU_CYCLE_1)
	s_or_b32 s15, s13, s15
	s_and_not1_b32 exec_lo, exec_lo, s15
	s_cbranch_execz .LBB6_194
.LBB6_57:                               ;   Parent Loop BB6_47 Depth=1
                                        ; =>  This Loop Header: Depth=2
                                        ;       Child Loop BB6_65 Depth 3
                                        ;       Child Loop BB6_89 Depth 3
	;; [unrolled: 1-line block ×9, first 2 shown]
	s_and_saveexec_b32 s13, s0
	s_cbranch_execz .LBB6_59
; %bb.58:                               ;   in Loop: Header=BB6_57 Depth=2
	s_trap 2
	ds_load_b64 v[4:5], v0
	v_ashrrev_i32_e32 v11, 31, v10
	s_wait_dscnt 0x0
	v_lshl_add_u64 v[4:5], v[116:117], 2, v[4:5]
	s_delay_alu instid0(VALU_DEP_1) | instskip(NEXT) | instid1(VALU_DEP_1)
	v_lshl_add_u64 v[4:5], v[12:13], 2, v[4:5]
	v_lshl_add_u64 v[4:5], v[10:11], 2, v[4:5]
	ds_store_b64 v0, v[4:5]
	ds_store_b64 v0, v[20:21]
.LBB6_59:                               ;   in Loop: Header=BB6_57 Depth=2
	s_or_b32 exec_lo, exec_lo, s13
	v_sub_nc_u32_e32 v4, v3, v10
	v_and_b32_e32 v5, 8, v30
	s_mov_b32 s18, exec_lo
	s_delay_alu instid0(VALU_DEP_2) | instskip(NEXT) | instid1(VALU_DEP_2)
	v_min_i32_e32 v8, v8, v4
	v_cmpx_ne_u32_e32 0, v5
	s_cbranch_execz .LBB6_81
; %bb.60:                               ;   in Loop: Header=BB6_57 Depth=2
	s_wait_loadcnt_dscnt 0x1
	v_add_nc_u64_e32 v[4:5], 8, v[38:39]
	v_add_nc_u64_e32 v[14:15], 2, v[112:113]
	s_mov_b32 s19, exec_lo
	s_delay_alu instid0(VALU_DEP_1)
	v_cmpx_lt_u64_e64 v[4:5], v[14:15]
	s_cbranch_execz .LBB6_72
; %bb.61:                               ;   in Loop: Header=BB6_57 Depth=2
	v_and_b32_e32 v4, 64, v30
	s_mov_b32 s20, 0
	s_mov_b32 s72, 0
                                        ; implicit-def: $sgpr21
                                        ; implicit-def: $sgpr24
                                        ; implicit-def: $sgpr43
	s_delay_alu instid0(VALU_DEP_1)
	v_cmp_eq_u32_e32 vcc_lo, 0, v4
	s_branch .LBB6_65
.LBB6_62:                               ;   in Loop: Header=BB6_65 Depth=3
	s_wait_loadcnt_dscnt 0x0
	v_add_nc_u64_e32 v[4:5], 8, v[38:39]
	s_or_b32 s75, s75, exec_lo
	s_delay_alu instid0(VALU_DEP_1)
	v_cmp_ge_u64_e64 s13, v[4:5], v[14:15]
	s_or_not1_b32 s74, s13, exec_lo
.LBB6_63:                               ;   in Loop: Header=BB6_65 Depth=3
	s_or_b32 exec_lo, exec_lo, s77
	s_delay_alu instid0(SALU_CYCLE_1)
	s_and_not1_b32 s13, s43, exec_lo
	s_and_b32 s43, s75, exec_lo
	s_and_not1_b32 s24, s24, exec_lo
	s_and_b32 s74, s74, exec_lo
	s_or_b32 s43, s13, s43
	s_or_b32 s24, s24, s74
.LBB6_64:                               ;   in Loop: Header=BB6_65 Depth=3
	s_or_b32 exec_lo, exec_lo, s73
	s_delay_alu instid0(SALU_CYCLE_1) | instskip(NEXT) | instid1(SALU_CYCLE_1)
	s_and_b32 s13, exec_lo, s24
	s_or_b32 s20, s13, s20
	s_and_not1_b32 s13, s21, exec_lo
	s_and_b32 s21, s43, exec_lo
	s_delay_alu instid0(SALU_CYCLE_1)
	s_or_b32 s21, s13, s21
	s_and_not1_b32 exec_lo, exec_lo, s20
	s_cbranch_execz .LBB6_69
.LBB6_65:                               ;   Parent Loop BB6_47 Depth=1
                                        ;     Parent Loop BB6_57 Depth=2
                                        ; =>    This Inner Loop Header: Depth=3
	s_sleep 1
	s_wait_loadcnt_dscnt 0x0
	flat_load_b64 v[38:39], v[26:27] scope:SCOPE_SYS
	s_or_b32 s43, s43, exec_lo
	s_or_b32 s24, s24, exec_lo
                                        ; implicit-def: $vgpr9
	s_wait_xcnt 0x0
	s_and_saveexec_b32 s73, vcc_lo
	s_cbranch_execz .LBB6_64
; %bb.66:                               ;   in Loop: Header=BB6_65 Depth=3
	s_cmp_lt_i32 s72, 0x270f
	s_mov_b32 s74, -1
	s_cselect_b32 s76, -1, 0
	s_cmp_gt_i32 s72, 0x270e
	s_cbranch_scc0 .LBB6_68
; %bb.67:                               ;   in Loop: Header=BB6_65 Depth=3
	s_trap 2
	ds_load_b64 v[4:5], v0
	s_and_not1_b32 s72, s76, exec_lo
	s_mov_b32 s75, 0
	s_wait_storecnt 0x0
	s_wait_loadcnt_dscnt 0x0
	flat_load_b32 v9, v[4:5] scope:SCOPE_SYS
	s_wait_loadcnt_dscnt 0x0
	global_inv scope:SCOPE_SYS
	v_cmp_eq_u32_e64 s13, 0, v9
	s_and_b32 s13, s13, exec_lo
	s_delay_alu instid0(SALU_CYCLE_1)
	s_or_b32 s76, s72, s13
	s_mov_b32 s72, 0
	s_and_saveexec_b32 s77, s76
	s_cbranch_execz .LBB6_63
	s_branch .LBB6_62
.LBB6_68:                               ;   in Loop: Header=BB6_65 Depth=3
	s_add_co_i32 s72, s72, 1
	s_mov_b32 s75, -1
                                        ; implicit-def: $vgpr9
	s_and_saveexec_b32 s77, s76
	s_cbranch_execz .LBB6_63
	s_branch .LBB6_62
.LBB6_69:                               ;   in Loop: Header=BB6_57 Depth=2
	s_or_b32 exec_lo, exec_lo, s20
	s_xor_b32 s13, s21, -1
	s_delay_alu instid0(SALU_CYCLE_1) | instskip(NEXT) | instid1(SALU_CYCLE_1)
	s_and_saveexec_b32 s20, s13
	s_xor_b32 s13, exec_lo, s20
	s_cbranch_execz .LBB6_71
; %bb.70:                               ;   in Loop: Header=BB6_57 Depth=2
	v_or_b32_e32 v30, 64, v30
	s_wait_storecnt 0x0
	s_wait_loadcnt_dscnt 0x0
	ds_store_b32 v0, v9
	s_trap 2
.LBB6_71:                               ;   in Loop: Header=BB6_57 Depth=2
	s_or_b32 exec_lo, exec_lo, s13
.LBB6_72:                               ;   in Loop: Header=BB6_57 Depth=2
	s_delay_alu instid0(SALU_CYCLE_1) | instskip(SKIP_4) | instid1(VALU_DEP_1)
	s_or_b32 exec_lo, exec_lo, s19
	v_and_b32_e32 v4, 0x100, v30
	s_mov_b32 s19, 0
	s_mov_b32 s13, exec_lo
	;;#ASMSTART
	s_wakeup
	;;#ASMEND
                                        ; implicit-def: $vgpr16_vgpr17
                                        ; implicit-def: $vgpr18_vgpr19
	v_cmpx_ne_u32_e32 0, v4
	s_xor_b32 s13, exec_lo, s13
	s_cbranch_execz .LBB6_93
; %bb.73:                               ;   in Loop: Header=BB6_57 Depth=2
	v_and_b32_e32 v16, 7, v112
	v_ashrrev_i32_e32 v9, 31, v8
	s_mov_b32 s19, -1
	s_mov_b32 s20, exec_lo
                                        ; implicit-def: $vgpr18_vgpr19
	s_delay_alu instid0(VALU_DEP_2) | instskip(NEXT) | instid1(VALU_DEP_2)
	v_mad_nc_u64_u32 v[112:113], v16, 24, v[6:7]
	v_lshlrev_b64_e32 v[4:5], 2, v[8:9]
	s_clause 0x1
	flat_load_b32 v11, v[112:113]
	flat_store_b64 v[112:113], v[4:5] offset:8
	s_wait_loadcnt_dscnt 0x1
	v_cmpx_eq_u32_e32 1, v11
	s_cbranch_execz .LBB6_75
; %bb.74:                               ;   in Loop: Header=BB6_57 Depth=2
	flat_load_b32 v4, v[112:113] offset:4 scope:SCOPE_SYS
	s_xor_b32 s19, exec_lo, -1
	s_wait_loadcnt_dscnt 0x0
	v_ashrrev_i32_e32 v5, 31, v4
	s_delay_alu instid0(VALU_DEP_1)
	v_lshrrev_b64 v[18:19], 2, v[4:5]
.LBB6_75:                               ;   in Loop: Header=BB6_57 Depth=2
	s_wait_xcnt 0x0
	s_or_b32 exec_lo, exec_lo, s20
	v_mov_b32_e32 v17, v2
	s_and_b32 s19, s19, exec_lo
                                        ; implicit-def: $vgpr112_vgpr113
	s_and_not1_saveexec_b32 s13, s13
	s_cbranch_execnz .LBB6_94
.LBB6_76:                               ;   in Loop: Header=BB6_57 Depth=2
	s_or_b32 exec_lo, exec_lo, s13
	s_and_saveexec_b32 s13, s19
.LBB6_77:                               ;   in Loop: Header=BB6_57 Depth=2
	v_mul_u64_e32 v[18:19], v[16:17], v[28:29]
.LBB6_78:                               ;   in Loop: Header=BB6_57 Depth=2
	s_or_b32 exec_lo, exec_lo, s13
	v_and_b32_e32 v9, 0x2000, v30
	s_delay_alu instid0(VALU_DEP_2)
	v_lshl_add_u64 v[4:5], v[18:19], 2, v[32:33]
	s_mov_b32 s13, exec_lo
	ds_store_b64 v0, v[4:5] offset:784
	v_cmpx_ne_u32_e32 0, v9
	s_cbranch_execz .LBB6_80
; %bb.79:                               ;   in Loop: Header=BB6_57 Depth=2
	ds_load_b64 v[4:5], v0 offset:872
	s_wait_dscnt 0x0
	v_add_nc_u64_e32 v[4:5], 1, v[4:5]
	ds_store_b64 v0, v[4:5] offset:872
.LBB6_80:                               ;   in Loop: Header=BB6_57 Depth=2
	s_or_b32 exec_lo, exec_lo, s13
	v_mov_b64_e32 v[112:113], v[14:15]
.LBB6_81:                               ;   in Loop: Header=BB6_57 Depth=2
	s_or_b32 exec_lo, exec_lo, s18
	s_and_saveexec_b32 s13, s2
	s_cbranch_execz .LBB6_102
; %bb.82:                               ;   in Loop: Header=BB6_57 Depth=2
	s_and_saveexec_b32 s18, s3
	s_delay_alu instid0(SALU_CYCLE_1)
	s_xor_b32 s18, exec_lo, s18
	s_cbranch_execz .LBB6_99
; %bb.83:                               ;   in Loop: Header=BB6_57 Depth=2
	s_and_saveexec_b32 s19, s6
	s_cbranch_execz .LBB6_98
; %bb.84:                               ;   in Loop: Header=BB6_57 Depth=2
	s_mov_b32 s21, exec_lo
	s_mov_b32 s20, exec_lo
	v_mbcnt_lo_u32_b32 v4, s21, 0
	global_wb scope:SCOPE_DEV
	s_wait_storecnt 0x0
	s_wait_loadcnt_dscnt 0x0
	global_inv scope:SCOPE_DEV
	v_cmpx_eq_u32_e32 0, v4
	s_cbranch_execz .LBB6_86
; %bb.85:                               ;   in Loop: Header=BB6_57 Depth=2
	s_bcnt1_i32_b32 s21, s21
	s_delay_alu instid0(SALU_CYCLE_1)
	v_dual_mov_b32 v5, v2 :: v_dual_mov_b32 v4, s21
	s_wait_loadcnt 0x0
	ds_add_u64 v0, v[4:5]
	s_trap 2
.LBB6_86:                               ;   in Loop: Header=BB6_57 Depth=2
	s_or_b32 exec_lo, exec_lo, s20
	s_trap 2
	ds_load_b64 v[4:5], v0
	s_wait_dscnt 0x0
	v_add_nc_u64_e32 v[36:37], v[36:37], v[48:49]
	s_mov_b32 s20, exec_lo
	s_delay_alu instid0(VALU_DEP_1)
	v_cmpx_lt_u64_e64 v[4:5], v[36:37]
	s_cbranch_execz .LBB6_97
; %bb.87:                               ;   in Loop: Header=BB6_57 Depth=2
	s_mov_b32 s21, 0
	s_mov_b32 s72, 0
                                        ; implicit-def: $sgpr24
                                        ; implicit-def: $sgpr43
	s_branch .LBB6_89
.LBB6_88:                               ;   in Loop: Header=BB6_89 Depth=3
	s_or_b32 exec_lo, exec_lo, s74
	s_delay_alu instid0(SALU_CYCLE_1) | instskip(NEXT) | instid1(SALU_CYCLE_1)
	s_and_b32 s73, exec_lo, s75
	s_or_b32 s21, s73, s21
	s_and_not1_b32 s24, s24, exec_lo
	s_and_b32 s73, s43, exec_lo
	s_delay_alu instid0(SALU_CYCLE_1)
	s_or_b32 s24, s24, s73
	s_and_not1_b32 exec_lo, exec_lo, s21
	s_cbranch_execz .LBB6_95
.LBB6_89:                               ;   Parent Loop BB6_47 Depth=1
                                        ;     Parent Loop BB6_57 Depth=2
                                        ; =>    This Inner Loop Header: Depth=3
	s_add_co_i32 s72, s72, 1
	s_delay_alu instid0(SALU_CYCLE_1) | instskip(SKIP_1) | instid1(SALU_CYCLE_1)
	s_cmp_lg_u32 s72, 0x2710
	s_cselect_b32 s73, -1, 0
	s_and_b32 vcc_lo, exec_lo, s73
	s_cbranch_vccz .LBB6_91
; %bb.90:                               ;   in Loop: Header=BB6_89 Depth=3
	s_mov_b32 s75, -1
	s_or_b32 s43, s43, exec_lo
	s_and_saveexec_b32 s74, s73
	s_cbranch_execz .LBB6_88
	s_branch .LBB6_92
.LBB6_91:                               ;   in Loop: Header=BB6_89 Depth=3
	s_trap 2
	ds_load_b64 v[4:5], v0
	s_and_not1_b32 s73, s73, exec_lo
	s_mov_b32 s72, 0
	s_wait_loadcnt_dscnt 0x0
	flat_load_b32 v4, v[4:5] scope:SCOPE_SYS
	s_wait_loadcnt_dscnt 0x0
	global_inv scope:SCOPE_SYS
	v_cmp_eq_u32_e32 vcc_lo, 0, v4
	s_and_b32 s74, vcc_lo, exec_lo
	s_delay_alu instid0(SALU_CYCLE_1)
	s_or_b32 s73, s73, s74
	s_mov_b32 s75, -1
	s_or_b32 s43, s43, exec_lo
	s_and_saveexec_b32 s74, s73
	s_cbranch_execz .LBB6_88
.LBB6_92:                               ;   in Loop: Header=BB6_89 Depth=3
	s_sleep 1
	s_trap 2
	ds_load_b64 v[4:5], v0
	s_wait_dscnt 0x0
	s_and_not1_b32 s43, s43, exec_lo
	v_cmp_ge_u64_e32 vcc_lo, v[4:5], v[36:37]
	s_or_not1_b32 s75, vcc_lo, exec_lo
	s_branch .LBB6_88
.LBB6_93:                               ;   in Loop: Header=BB6_57 Depth=2
	s_and_not1_saveexec_b32 s13, s13
	s_cbranch_execz .LBB6_76
.LBB6_94:                               ;   in Loop: Header=BB6_57 Depth=2
	v_dual_mov_b32 v17, v2 :: v_dual_bitop2_b32 v16, 7, v112 bitop3:0x40
	s_or_b32 s19, s19, exec_lo
	s_or_b32 exec_lo, exec_lo, s13
	s_and_saveexec_b32 s13, s19
	s_cbranch_execnz .LBB6_77
	s_branch .LBB6_78
.LBB6_95:                               ;   in Loop: Header=BB6_57 Depth=2
	s_or_b32 exec_lo, exec_lo, s21
	s_and_saveexec_b32 s21, s24
	s_delay_alu instid0(SALU_CYCLE_1)
	s_xor_b32 s21, exec_lo, s21
	s_cbranch_execz .LBB6_97
; %bb.96:                               ;   in Loop: Header=BB6_57 Depth=2
	ds_store_b32 v0, v89
	s_trap 2
.LBB6_97:                               ;   in Loop: Header=BB6_57 Depth=2
	s_or_b32 exec_lo, exec_lo, s20
	;;#ASMSTART
	s_wakeup
	;;#ASMEND
.LBB6_98:                               ;   in Loop: Header=BB6_57 Depth=2
	s_or_b32 exec_lo, exec_lo, s19
.LBB6_99:                               ;   in Loop: Header=BB6_57 Depth=2
	s_and_not1_saveexec_b32 s18, s18
	s_cbranch_execz .LBB6_101
; %bb.100:                              ;   in Loop: Header=BB6_57 Depth=2
	global_wb scope:SCOPE_DEV
	s_wait_storecnt 0x0
	s_wait_loadcnt_dscnt 0x0
	global_inv scope:SCOPE_DEV
	s_barrier_signal -1
	s_barrier_wait -1
.LBB6_101:                              ;   in Loop: Header=BB6_57 Depth=2
	s_or_b32 exec_lo, exec_lo, s18
.LBB6_102:                              ;   in Loop: Header=BB6_57 Depth=2
	s_delay_alu instid0(SALU_CYCLE_1) | instskip(SKIP_4) | instid1(VALU_DEP_1)
	s_or_b32 exec_lo, exec_lo, s13
	s_trap 2
	ds_load_b32 v9, v0
	v_and_b32_e32 v4, 0x4000, v30
	s_xor_b32 s13, s1, -1
	v_cmp_ne_u32_e32 vcc_lo, 0, v4
	s_and_b32 s18, s13, vcc_lo
	s_delay_alu instid0(SALU_CYCLE_1)
	s_and_saveexec_b32 s13, s18
	s_cbranch_execz .LBB6_121
; %bb.103:                              ;   in Loop: Header=BB6_57 Depth=2
	s_and_saveexec_b32 s18, s3
	s_delay_alu instid0(SALU_CYCLE_1)
	s_xor_b32 s18, exec_lo, s18
	s_cbranch_execz .LBB6_118
; %bb.104:                              ;   in Loop: Header=BB6_57 Depth=2
	s_and_saveexec_b32 s19, s6
	s_cbranch_execz .LBB6_117
; %bb.105:                              ;   in Loop: Header=BB6_57 Depth=2
	s_mov_b32 s21, exec_lo
	s_mov_b32 s20, exec_lo
	v_mbcnt_lo_u32_b32 v4, s21, 0
	global_wb scope:SCOPE_DEV
	s_wait_storecnt 0x0
	s_wait_loadcnt_dscnt 0x0
	global_inv scope:SCOPE_DEV
	v_cmpx_eq_u32_e32 0, v4
	s_cbranch_execz .LBB6_107
; %bb.106:                              ;   in Loop: Header=BB6_57 Depth=2
	s_bcnt1_i32_b32 s21, s21
	s_delay_alu instid0(SALU_CYCLE_1)
	v_dual_mov_b32 v5, v2 :: v_dual_mov_b32 v4, s21
	s_wait_loadcnt 0x0
	ds_add_u64 v0, v[4:5]
	s_trap 2
.LBB6_107:                              ;   in Loop: Header=BB6_57 Depth=2
	s_or_b32 exec_lo, exec_lo, s20
	s_trap 2
	ds_load_b64 v[4:5], v0
	s_wait_dscnt 0x0
	v_add_nc_u64_e32 v[36:37], v[36:37], v[48:49]
	s_mov_b32 s20, exec_lo
	s_delay_alu instid0(VALU_DEP_1)
	v_cmpx_lt_u64_e64 v[4:5], v[36:37]
	s_cbranch_execz .LBB6_116
; %bb.108:                              ;   in Loop: Header=BB6_57 Depth=2
	s_mov_b32 s21, 0
	s_mov_b32 s72, 0
                                        ; implicit-def: $sgpr24
                                        ; implicit-def: $sgpr43
	s_branch .LBB6_110
.LBB6_109:                              ;   in Loop: Header=BB6_110 Depth=3
	s_or_b32 exec_lo, exec_lo, s74
	s_delay_alu instid0(SALU_CYCLE_1) | instskip(NEXT) | instid1(SALU_CYCLE_1)
	s_and_b32 s73, exec_lo, s75
	s_or_b32 s21, s73, s21
	s_and_not1_b32 s24, s24, exec_lo
	s_and_b32 s73, s43, exec_lo
	s_delay_alu instid0(SALU_CYCLE_1)
	s_or_b32 s24, s24, s73
	s_and_not1_b32 exec_lo, exec_lo, s21
	s_cbranch_execz .LBB6_114
.LBB6_110:                              ;   Parent Loop BB6_47 Depth=1
                                        ;     Parent Loop BB6_57 Depth=2
                                        ; =>    This Inner Loop Header: Depth=3
	s_add_co_i32 s72, s72, 1
	s_delay_alu instid0(SALU_CYCLE_1) | instskip(SKIP_1) | instid1(SALU_CYCLE_1)
	s_cmp_lg_u32 s72, 0x2710
	s_cselect_b32 s73, -1, 0
	s_and_b32 vcc_lo, exec_lo, s73
	s_cbranch_vccz .LBB6_112
; %bb.111:                              ;   in Loop: Header=BB6_110 Depth=3
	s_mov_b32 s75, -1
	s_or_b32 s43, s43, exec_lo
	s_and_saveexec_b32 s74, s73
	s_cbranch_execz .LBB6_109
	s_branch .LBB6_113
.LBB6_112:                              ;   in Loop: Header=BB6_110 Depth=3
	s_trap 2
	ds_load_b64 v[4:5], v0
	s_and_not1_b32 s73, s73, exec_lo
	s_mov_b32 s72, 0
	s_wait_loadcnt_dscnt 0x0
	flat_load_b32 v4, v[4:5] scope:SCOPE_SYS
	s_wait_loadcnt_dscnt 0x0
	global_inv scope:SCOPE_SYS
	v_cmp_eq_u32_e32 vcc_lo, 0, v4
	s_and_b32 s74, vcc_lo, exec_lo
	s_delay_alu instid0(SALU_CYCLE_1)
	s_or_b32 s73, s73, s74
	s_mov_b32 s75, -1
	s_or_b32 s43, s43, exec_lo
	s_and_saveexec_b32 s74, s73
	s_cbranch_execz .LBB6_109
.LBB6_113:                              ;   in Loop: Header=BB6_110 Depth=3
	s_sleep 1
	s_trap 2
	ds_load_b64 v[4:5], v0
	s_wait_dscnt 0x0
	s_and_not1_b32 s43, s43, exec_lo
	v_cmp_ge_u64_e32 vcc_lo, v[4:5], v[36:37]
	s_or_not1_b32 s75, vcc_lo, exec_lo
	s_branch .LBB6_109
.LBB6_114:                              ;   in Loop: Header=BB6_57 Depth=2
	s_or_b32 exec_lo, exec_lo, s21
	s_and_saveexec_b32 s21, s24
	s_delay_alu instid0(SALU_CYCLE_1)
	s_xor_b32 s21, exec_lo, s21
	s_cbranch_execz .LBB6_116
; %bb.115:                              ;   in Loop: Header=BB6_57 Depth=2
	ds_store_b32 v0, v89
	s_trap 2
.LBB6_116:                              ;   in Loop: Header=BB6_57 Depth=2
	s_or_b32 exec_lo, exec_lo, s20
	;;#ASMSTART
	s_wakeup
	;;#ASMEND
.LBB6_117:                              ;   in Loop: Header=BB6_57 Depth=2
	s_or_b32 exec_lo, exec_lo, s19
.LBB6_118:                              ;   in Loop: Header=BB6_57 Depth=2
	s_and_not1_saveexec_b32 s18, s18
	s_cbranch_execz .LBB6_120
; %bb.119:                              ;   in Loop: Header=BB6_57 Depth=2
	global_wb scope:SCOPE_DEV
	s_wait_storecnt 0x0
	s_wait_loadcnt_dscnt 0x0
	global_inv scope:SCOPE_DEV
	s_barrier_signal -1
	s_barrier_wait -1
.LBB6_120:                              ;   in Loop: Header=BB6_57 Depth=2
	s_or_b32 exec_lo, exec_lo, s18
.LBB6_121:                              ;   in Loop: Header=BB6_57 Depth=2
	s_delay_alu instid0(SALU_CYCLE_1)
	s_or_b32 exec_lo, exec_lo, s13
	s_trap 2
	ds_load_b64 v[14:15], v0
	s_wait_dscnt 0x0
	v_cmp_eq_u64_e32 vcc_lo, 0, v[14:15]
	s_cbranch_vccnz .LBB6_129
; %bb.122:                              ;   in Loop: Header=BB6_57 Depth=2
	s_trap 2
	ds_load_b64 v[16:17], v0
	s_wait_dscnt 0x0
	v_cmp_eq_u64_e32 vcc_lo, 0, v[16:17]
	s_cbranch_vccnz .LBB6_129
; %bb.123:                              ;   in Loop: Header=BB6_57 Depth=2
	s_mov_b32 s13, -1
	s_and_saveexec_b32 s18, s7
	s_cbranch_execz .LBB6_125
; %bb.124:                              ;   in Loop: Header=BB6_57 Depth=2
	ds_load_b32 v4, v0 offset:720
	s_wait_dscnt 0x0
	v_and_b32_e32 v4, 15, v4
	s_delay_alu instid0(VALU_DEP_1)
	v_cmp_eq_u32_e32 vcc_lo, 0, v4
	s_or_not1_b32 s13, vcc_lo, exec_lo
.LBB6_125:                              ;   in Loop: Header=BB6_57 Depth=2
	s_or_b32 exec_lo, exec_lo, s18
	s_and_saveexec_b32 s18, s10
	s_cbranch_execz .LBB6_127
; %bb.126:                              ;   in Loop: Header=BB6_57 Depth=2
	ds_load_b32 v4, v0 offset:784
	s_wait_dscnt 0x0
	v_and_b32_e32 v4, 15, v4
	s_delay_alu instid0(VALU_DEP_1) | instskip(SKIP_3) | instid1(SALU_CYCLE_1)
	v_cmp_eq_u32_e32 vcc_lo, 0, v4
	s_and_b32 s19, s13, vcc_lo
	s_and_not1_b32 s13, s13, exec_lo
	s_and_b32 s19, s19, exec_lo
	s_or_b32 s13, s13, s19
.LBB6_127:                              ;   in Loop: Header=BB6_57 Depth=2
	s_or_b32 exec_lo, exec_lo, s18
	v_cmp_eq_u32_e32 vcc_lo, 0, v9
	s_xor_b32 s13, s13, -1
	s_mov_b32 s19, -1
	v_cndmask_b32_e64 v4, 0, 1, s13
	v_dual_mov_b32 v42, 0 :: v_dual_cndmask_b32 v9, 0, v8
	s_delay_alu instid0(VALU_DEP_2) | instskip(NEXT) | instid1(VALU_DEP_2)
	v_cmp_ne_u32_e32 vcc_lo, 0, v4
	v_lshlrev_b32_e32 v11, 2, v9
	s_cbranch_vccz .LBB6_134
; %bb.128:                              ;   in Loop: Header=BB6_57 Depth=2
	v_mov_b32_e32 v43, v0
	s_and_saveexec_b32 s13, s19
	s_cbranch_execnz .LBB6_145
	s_branch .LBB6_153
.LBB6_129:                              ;   in Loop: Header=BB6_57 Depth=2
	s_mov_b32 s13, 0
	s_and_saveexec_b32 s18, s2
	s_cbranch_execnz .LBB6_154
.LBB6_130:                              ;   in Loop: Header=BB6_57 Depth=2
	s_or_b32 exec_lo, exec_lo, s18
                                        ; implicit-def: $vgpr9
	s_and_saveexec_b32 s18, s12
	s_delay_alu instid0(SALU_CYCLE_1)
	s_xor_b32 s18, exec_lo, s18
	s_cbranch_execz .LBB6_172
.LBB6_131:                              ;   in Loop: Header=BB6_57 Depth=2
	v_and_b32_e32 v4, 16, v30
	v_and_b32_e32 v9, 16, v30
	s_delay_alu instid0(VALU_DEP_2) | instskip(SKIP_1) | instid1(SALU_CYCLE_1)
	v_cmp_ne_u32_e32 vcc_lo, 0, v4
	s_and_b32 s19, vcc_lo, s13
	s_and_saveexec_b32 s13, s19
	s_cbranch_execz .LBB6_133
; %bb.132:                              ;   in Loop: Header=BB6_57 Depth=2
	v_mov_b32_e32 v9, 1
	global_wb scope:SCOPE_SYS
	s_wait_storecnt 0x0
	s_wait_loadcnt_dscnt 0x0
	global_inv scope:SCOPE_SYS
.LBB6_133:                              ;   in Loop: Header=BB6_57 Depth=2
	s_or_b32 exec_lo, exec_lo, s13
	s_and_not1_saveexec_b32 s13, s18
	s_cbranch_execz .LBB6_191
	s_branch .LBB6_173
.LBB6_134:                              ;   in Loop: Header=BB6_57 Depth=2
	s_delay_alu instid0(VALU_DEP_1) | instskip(SKIP_1) | instid1(VALU_DEP_1)
	v_ashrrev_i32_e32 v4, 31, v11
	s_mov_b32 s13, exec_lo
	v_lshrrev_b32_e32 v4, 20, v4
	s_delay_alu instid0(VALU_DEP_1) | instskip(NEXT) | instid1(VALU_DEP_1)
	v_add_nc_u32_e32 v4, v11, v4
	v_ashrrev_i32_e32 v41, 12, v4
	s_delay_alu instid0(VALU_DEP_1) | instskip(NEXT) | instid1(VALU_DEP_1)
	v_sub_nc_u32_e32 v40, v41, v88
	v_cmpx_lt_i32_e32 0, v40
	s_cbranch_execz .LBB6_138
; %bb.135:                              ;   in Loop: Header=BB6_57 Depth=2
	v_mov_b64_e32 v[18:19], v[16:17]
	v_mov_b64_e32 v[118:119], v[14:15]
	s_mov_b32 s18, 0
.LBB6_136:                              ;   Parent Loop BB6_47 Depth=1
                                        ;     Parent Loop BB6_57 Depth=2
                                        ; =>    This Inner Loop Header: Depth=3
	s_delay_alu instid0(VALU_DEP_1)
	v_add_nc_u64_e32 v[4:5], v[82:83], v[118:119]
	v_sub_nc_u32_e32 v40, v40, v48
	v_add_nc_u64_e32 v[118:119], v[118:119], v[54:55]
	s_clause 0x7
	global_load_b128 v[42:45], v[4:5], off th:TH_LOAD_NT
	global_load_b128 v[56:59], v[4:5], off offset:512 th:TH_LOAD_NT
	global_load_b128 v[60:63], v[4:5], off offset:1024 th:TH_LOAD_NT
	;; [unrolled: 1-line block ×7, first 2 shown]
	s_wait_xcnt 0x0
	v_add_nc_u64_e32 v[4:5], v[82:83], v[18:19]
	v_add_nc_u64_e32 v[18:19], v[18:19], v[54:55]
	v_cmp_gt_i32_e32 vcc_lo, 1, v40
	s_wait_loadcnt 0x7
	global_store_b128 v[4:5], v[42:45], off th:TH_STORE_NT
	s_wait_loadcnt 0x6
	global_store_b128 v[4:5], v[56:59], off offset:512 th:TH_STORE_NT
	s_wait_loadcnt 0x5
	global_store_b128 v[4:5], v[60:63], off offset:1024 th:TH_STORE_NT
	;; [unrolled: 2-line block ×7, first 2 shown]
	s_or_b32 s18, vcc_lo, s18
	s_wait_xcnt 0x0
	s_and_not1_b32 exec_lo, exec_lo, s18
	s_cbranch_execnz .LBB6_136
; %bb.137:                              ;   in Loop: Header=BB6_57 Depth=2
	s_or_b32 exec_lo, exec_lo, s18
.LBB6_138:                              ;   in Loop: Header=BB6_57 Depth=2
	s_delay_alu instid0(SALU_CYCLE_1) | instskip(SKIP_3) | instid1(VALU_DEP_1)
	s_or_b32 exec_lo, exec_lo, s13
	v_dual_lshlrev_b32 v118, 12, v41 :: v_dual_mov_b32 v42, 0
	s_mov_b32 s19, 0
	s_mov_b32 s18, exec_lo
                                        ; implicit-def: $vgpr43
	v_cmpx_ne_u32_e64 v11, v118
	s_cbranch_execz .LBB6_144
; %bb.139:                              ;   in Loop: Header=BB6_57 Depth=2
	v_dual_lshlrev_b32 v4, 5, v40 :: v_dual_sub_nc_u32 v19, v11, v118
	s_mov_b32 s19, exec_lo
	s_delay_alu instid0(VALU_DEP_1) | instskip(NEXT) | instid1(VALU_DEP_1)
	v_dual_sub_nc_u32 v4, v124, v4 :: v_dual_ashrrev_i32 v18, 31, v19
	v_dual_ashrrev_i32 v5, 31, v4 :: v_dual_lshrrev_b32 v18, 23, v18
	s_delay_alu instid0(VALU_DEP_1) | instskip(NEXT) | instid1(VALU_DEP_1)
	v_lshrrev_b32_e32 v5, 27, v5
	v_dual_add_nc_u32 v5, v4, v5 :: v_dual_add_nc_u32 v18, v19, v18
	s_delay_alu instid0(VALU_DEP_1) | instskip(NEXT) | instid1(VALU_DEP_1)
	v_and_b32_e32 v22, 0xffffffe0, v5
	v_dual_sub_nc_u32 v119, v4, v22 :: v_dual_ashrrev_i32 v4, 5, v5
	s_delay_alu instid0(VALU_DEP_3) | instskip(NEXT) | instid1(VALU_DEP_1)
	v_and_b32_e32 v40, 0xfffffe00, v18
	v_dual_ashrrev_i32 v22, 9, v18 :: v_dual_sub_nc_u32 v41, v19, v40
	s_delay_alu instid0(VALU_DEP_3) | instskip(NEXT) | instid1(VALU_DEP_2)
	v_lshlrev_b32_e32 v5, 4, v119
	v_cmp_lt_i32_e32 vcc_lo, 15, v41
	s_delay_alu instid0(VALU_DEP_2) | instskip(NEXT) | instid1(VALU_DEP_4)
	v_lshl_add_u32 v18, v4, 9, v5
	v_add_co_ci_u32_e64 v5, null, 0, v22, vcc_lo
	s_delay_alu instid0(VALU_DEP_1) | instskip(NEXT) | instid1(VALU_DEP_1)
	v_dual_sub_nc_u32 v43, v19, v18 :: v_dual_sub_nc_u32 v42, v5, v4
	v_cmpx_lt_i32_e32 15, v43
	s_cbranch_execz .LBB6_143
; %bb.140:                              ;   in Loop: Header=BB6_57 Depth=2
	v_add_nc_u32_e32 v18, v18, v118
	s_mov_b32 s20, 0
	s_delay_alu instid0(VALU_DEP_1)
	v_ashrrev_i32_e32 v19, 31, v18
.LBB6_141:                              ;   Parent Loop BB6_47 Depth=1
                                        ;     Parent Loop BB6_57 Depth=2
                                        ; =>    This Inner Loop Header: Depth=3
	s_delay_alu instid0(VALU_DEP_1) | instskip(SKIP_2) | instid1(VALU_DEP_2)
	v_add_nc_u64_e32 v[4:5], v[14:15], v[18:19]
	v_sub_nc_u32_e32 v43, v43, v64
	v_sub_nc_u32_e32 v42, v42, v48
	v_cmp_gt_i32_e64 s13, 16, v43
	global_load_b128 v[44:47], v[4:5], off th:TH_LOAD_NT
	s_wait_xcnt 0x0
	v_add_nc_u64_e32 v[4:5], v[16:17], v[18:19]
	v_add_nc_u64_e32 v[18:19], v[18:19], v[64:65]
	s_or_b32 s20, s13, s20
	s_wait_loadcnt 0x0
	global_store_b128 v[4:5], v[44:47], off th:TH_STORE_NT
	s_wait_xcnt 0x0
	s_and_not1_b32 exec_lo, exec_lo, s20
	s_cbranch_execnz .LBB6_141
; %bb.142:                              ;   in Loop: Header=BB6_57 Depth=2
	s_or_b32 exec_lo, exec_lo, s20
.LBB6_143:                              ;   in Loop: Header=BB6_57 Depth=2
	s_delay_alu instid0(SALU_CYCLE_1) | instskip(NEXT) | instid1(VALU_DEP_2)
	s_or_b32 exec_lo, exec_lo, s19
	v_cmp_lt_i32_e64 s13, 0, v42
	s_delay_alu instid0(VALU_DEP_1) | instskip(NEXT) | instid1(VALU_DEP_1)
	v_dual_cndmask_b32 v18, 0, v48, s13 :: v_dual_bitop2_b32 v4, 12, v11 bitop3:0x40
	v_dual_sub_nc_u32 v5, v41, v4 :: v_dual_cndmask_b32 v11, v41, v4, vcc_lo
	s_delay_alu instid0(VALU_DEP_1) | instskip(NEXT) | instid1(VALU_DEP_2)
	v_dual_cndmask_b32 v4, 0, v5 :: v_dual_sub_nc_u32 v5, v18, v42
	v_cmp_ne_u32_e32 vcc_lo, 0, v11
	s_delay_alu instid0(VALU_DEP_2) | instskip(NEXT) | instid1(VALU_DEP_3)
	v_add3_u32 v42, v40, v118, v4
	v_lshl_add_u32 v43, v5, 5, v119
	s_and_b32 s19, vcc_lo, exec_lo
.LBB6_144:                              ;   in Loop: Header=BB6_57 Depth=2
	s_or_b32 exec_lo, exec_lo, s18
	s_and_saveexec_b32 s13, s19
	s_cbranch_execz .LBB6_153
.LBB6_145:                              ;   in Loop: Header=BB6_57 Depth=2
	v_ashrrev_i32_e32 v5, 31, v11
	v_ashrrev_i32_e32 v4, 31, v43
	s_mov_b32 s18, exec_lo
	s_delay_alu instid0(VALU_DEP_1) | instskip(NEXT) | instid1(VALU_DEP_1)
	v_dual_lshrrev_b32 v5, 22, v5 :: v_dual_lshrrev_b32 v4, 27, v4
	v_add_nc_u32_e32 v18, v43, v4
	s_delay_alu instid0(VALU_DEP_2) | instskip(NEXT) | instid1(VALU_DEP_1)
	v_add_nc_u32_e32 v4, v11, v5
	v_dual_ashrrev_i32 v46, 10, v4 :: v_dual_ashrrev_i32 v44, 5, v18
	s_delay_alu instid0(VALU_DEP_1) | instskip(NEXT) | instid1(VALU_DEP_1)
	v_sub_nc_u32_e32 v45, v46, v44
	v_cmpx_lt_i32_e32 0, v45
	s_cbranch_execz .LBB6_149
; %bb.146:                              ;   in Loop: Header=BB6_57 Depth=2
	v_and_b32_e32 v4, 0x3fffffe0, v18
	v_lshlrev_b32_e32 v5, 10, v44
	v_mov_b64_e32 v[118:119], v[16:17]
	v_mov_b64_e32 v[40:41], v[14:15]
	s_mov_b32 s19, 0
	v_sub_nc_u32_e32 v4, v43, v4
	s_delay_alu instid0(VALU_DEP_1) | instskip(NEXT) | instid1(VALU_DEP_1)
	v_lshlrev_b32_e32 v4, 2, v4
	v_add3_u32 v18, v4, v42, v5
	s_delay_alu instid0(VALU_DEP_1)
	v_ashrrev_i32_e32 v19, 31, v18
.LBB6_147:                              ;   Parent Loop BB6_47 Depth=1
                                        ;     Parent Loop BB6_57 Depth=2
                                        ; =>    This Inner Loop Header: Depth=3
	s_delay_alu instid0(VALU_DEP_1)
	v_add_nc_u64_e32 v[4:5], v[18:19], v[40:41]
	v_sub_nc_u32_e32 v45, v45, v48
	v_add_nc_u64_e32 v[40:41], v[40:41], v[66:67]
	s_clause 0x7
	flat_load_b32 v22, v[4:5] th:TH_LOAD_NT
	flat_load_b32 v23, v[4:5] offset:128 th:TH_LOAD_NT
	flat_load_b32 v24, v[4:5] offset:256 th:TH_LOAD_NT
	;; [unrolled: 1-line block ×7, first 2 shown]
	s_wait_xcnt 0x0
	v_add_nc_u64_e32 v[4:5], v[18:19], v[118:119]
	v_add_nc_u64_e32 v[118:119], v[118:119], v[66:67]
	v_cmp_gt_i32_e32 vcc_lo, 1, v45
	s_wait_loadcnt_dscnt 0x707
	flat_store_b32 v[4:5], v22 th:TH_STORE_NT
	s_wait_loadcnt_dscnt 0x607
	flat_store_b32 v[4:5], v23 offset:128 th:TH_STORE_NT
	s_wait_loadcnt_dscnt 0x507
	flat_store_b32 v[4:5], v24 offset:256 th:TH_STORE_NT
	;; [unrolled: 2-line block ×7, first 2 shown]
	s_or_b32 s19, vcc_lo, s19
	s_wait_xcnt 0x0
	s_and_not1_b32 exec_lo, exec_lo, s19
	s_cbranch_execnz .LBB6_147
; %bb.148:                              ;   in Loop: Header=BB6_57 Depth=2
	s_or_b32 exec_lo, exec_lo, s19
.LBB6_149:                              ;   in Loop: Header=BB6_57 Depth=2
	s_delay_alu instid0(SALU_CYCLE_1) | instskip(SKIP_1) | instid1(VALU_DEP_1)
	s_or_b32 exec_lo, exec_lo, s18
	v_lshlrev_b32_e32 v18, 10, v46
	v_cmp_ne_u32_e32 vcc_lo, v11, v18
	s_and_b32 exec_lo, exec_lo, vcc_lo
	s_cbranch_execz .LBB6_153
; %bb.150:                              ;   in Loop: Header=BB6_57 Depth=2
	v_dual_lshlrev_b32 v4, 5, v44 :: v_dual_lshlrev_b32 v5, 5, v45
	s_delay_alu instid0(VALU_DEP_1) | instskip(NEXT) | instid1(VALU_DEP_1)
	v_sub_nc_u32_e32 v4, v43, v4
	v_sub_nc_u32_e32 v4, v4, v5
	s_delay_alu instid0(VALU_DEP_1) | instskip(NEXT) | instid1(VALU_DEP_1)
	v_ashrrev_i32_e32 v5, 31, v4
	v_lshrrev_b32_e32 v5, 27, v5
	s_delay_alu instid0(VALU_DEP_1) | instskip(NEXT) | instid1(VALU_DEP_1)
	v_add_nc_u32_e32 v5, v4, v5
	v_and_b32_e32 v19, 0x3fffffe0, v5
	s_delay_alu instid0(VALU_DEP_1) | instskip(NEXT) | instid1(VALU_DEP_1)
	v_dual_lshlrev_b32 v5, 2, v5 :: v_dual_sub_nc_u32 v4, v4, v19
	v_and_b32_e32 v5, 0xffffff80, v5
	s_delay_alu instid0(VALU_DEP_2) | instskip(NEXT) | instid1(VALU_DEP_1)
	v_lshlrev_b32_e32 v4, 2, v4
	v_add3_u32 v18, v5, v4, v18
	s_delay_alu instid0(VALU_DEP_1) | instskip(NEXT) | instid1(VALU_DEP_1)
	v_sub_nc_u32_e32 v11, v11, v18
	v_cmp_lt_i32_e32 vcc_lo, 3, v11
	s_and_b32 exec_lo, exec_lo, vcc_lo
	s_cbranch_execz .LBB6_153
; %bb.151:                              ;   in Loop: Header=BB6_57 Depth=2
	v_add_nc_u32_e32 v18, v18, v42
	s_mov_b32 s18, 0
	s_delay_alu instid0(VALU_DEP_1)
	v_ashrrev_i32_e32 v19, 31, v18
.LBB6_152:                              ;   Parent Loop BB6_47 Depth=1
                                        ;     Parent Loop BB6_57 Depth=2
                                        ; =>    This Inner Loop Header: Depth=3
	s_delay_alu instid0(VALU_DEP_1) | instskip(SKIP_1) | instid1(VALU_DEP_1)
	v_add_nc_u64_e32 v[4:5], v[14:15], v[18:19]
	v_sub_nc_u32_e32 v11, v11, v68
	v_cmp_gt_i32_e32 vcc_lo, 4, v11
	flat_load_b32 v22, v[4:5] th:TH_LOAD_NT
	s_wait_xcnt 0x0
	v_add_nc_u64_e32 v[4:5], v[16:17], v[18:19]
	v_add_nc_u64_e32 v[18:19], v[18:19], v[68:69]
	s_or_b32 s18, vcc_lo, s18
	s_wait_loadcnt_dscnt 0x0
	flat_store_b32 v[4:5], v22 th:TH_STORE_NT
	s_wait_xcnt 0x0
	s_and_not1_b32 exec_lo, exec_lo, s18
	s_cbranch_execnz .LBB6_152
.LBB6_153:                              ;   in Loop: Header=BB6_57 Depth=2
	s_or_b32 exec_lo, exec_lo, s13
	v_cmp_lt_i32_e64 s13, 0, v9
	s_and_saveexec_b32 s18, s2
	s_cbranch_execz .LBB6_130
.LBB6_154:                              ;   in Loop: Header=BB6_57 Depth=2
	s_and_saveexec_b32 s19, s3
	s_delay_alu instid0(SALU_CYCLE_1)
	s_xor_b32 s19, exec_lo, s19
	s_cbranch_execz .LBB6_169
; %bb.155:                              ;   in Loop: Header=BB6_57 Depth=2
	s_and_saveexec_b32 s20, s6
	s_cbranch_execz .LBB6_168
; %bb.156:                              ;   in Loop: Header=BB6_57 Depth=2
	s_mov_b32 s24, exec_lo
	s_mov_b32 s21, exec_lo
	v_mbcnt_lo_u32_b32 v4, s24, 0
	global_wb scope:SCOPE_DEV
	s_wait_storecnt 0x0
	s_wait_loadcnt_dscnt 0x0
	global_inv scope:SCOPE_DEV
	v_cmpx_eq_u32_e32 0, v4
	s_cbranch_execz .LBB6_158
; %bb.157:                              ;   in Loop: Header=BB6_57 Depth=2
	s_bcnt1_i32_b32 s24, s24
	s_delay_alu instid0(SALU_CYCLE_1)
	v_dual_mov_b32 v5, v2 :: v_dual_mov_b32 v4, s24
	s_wait_loadcnt 0x0
	ds_add_u64 v0, v[4:5]
	s_trap 2
.LBB6_158:                              ;   in Loop: Header=BB6_57 Depth=2
	s_or_b32 exec_lo, exec_lo, s21
	s_trap 2
	ds_load_b64 v[4:5], v0
	s_wait_dscnt 0x0
	v_add_nc_u64_e32 v[36:37], v[36:37], v[48:49]
	s_mov_b32 s21, exec_lo
	s_delay_alu instid0(VALU_DEP_1)
	v_cmpx_lt_u64_e64 v[4:5], v[36:37]
	s_cbranch_execz .LBB6_167
; %bb.159:                              ;   in Loop: Header=BB6_57 Depth=2
	s_mov_b32 s24, 0
	s_mov_b32 s73, 0
                                        ; implicit-def: $sgpr43
                                        ; implicit-def: $sgpr72
	s_branch .LBB6_161
.LBB6_160:                              ;   in Loop: Header=BB6_161 Depth=3
	s_or_b32 exec_lo, exec_lo, s75
	s_delay_alu instid0(SALU_CYCLE_1) | instskip(NEXT) | instid1(SALU_CYCLE_1)
	s_and_b32 s74, exec_lo, s76
	s_or_b32 s24, s74, s24
	s_and_not1_b32 s43, s43, exec_lo
	s_and_b32 s74, s72, exec_lo
	s_delay_alu instid0(SALU_CYCLE_1)
	s_or_b32 s43, s43, s74
	s_and_not1_b32 exec_lo, exec_lo, s24
	s_cbranch_execz .LBB6_165
.LBB6_161:                              ;   Parent Loop BB6_47 Depth=1
                                        ;     Parent Loop BB6_57 Depth=2
                                        ; =>    This Inner Loop Header: Depth=3
	s_add_co_i32 s73, s73, 1
	s_delay_alu instid0(SALU_CYCLE_1) | instskip(SKIP_1) | instid1(SALU_CYCLE_1)
	s_cmp_lg_u32 s73, 0x2710
	s_cselect_b32 s74, -1, 0
	s_and_b32 vcc_lo, exec_lo, s74
	s_cbranch_vccz .LBB6_163
; %bb.162:                              ;   in Loop: Header=BB6_161 Depth=3
	s_mov_b32 s76, -1
	s_or_b32 s72, s72, exec_lo
	s_and_saveexec_b32 s75, s74
	s_cbranch_execz .LBB6_160
	s_branch .LBB6_164
.LBB6_163:                              ;   in Loop: Header=BB6_161 Depth=3
	s_trap 2
	ds_load_b64 v[4:5], v0
	s_and_not1_b32 s74, s74, exec_lo
	s_mov_b32 s73, 0
	s_wait_loadcnt_dscnt 0x0
	flat_load_b32 v4, v[4:5] scope:SCOPE_SYS
	s_wait_loadcnt_dscnt 0x0
	global_inv scope:SCOPE_SYS
	v_cmp_eq_u32_e32 vcc_lo, 0, v4
	s_and_b32 s75, vcc_lo, exec_lo
	s_delay_alu instid0(SALU_CYCLE_1)
	s_or_b32 s74, s74, s75
	s_mov_b32 s76, -1
	s_or_b32 s72, s72, exec_lo
	s_and_saveexec_b32 s75, s74
	s_cbranch_execz .LBB6_160
.LBB6_164:                              ;   in Loop: Header=BB6_161 Depth=3
	s_sleep 1
	s_trap 2
	ds_load_b64 v[4:5], v0
	s_wait_dscnt 0x0
	s_and_not1_b32 s72, s72, exec_lo
	v_cmp_ge_u64_e32 vcc_lo, v[4:5], v[36:37]
	s_or_not1_b32 s76, vcc_lo, exec_lo
	s_branch .LBB6_160
.LBB6_165:                              ;   in Loop: Header=BB6_57 Depth=2
	s_or_b32 exec_lo, exec_lo, s24
	s_and_saveexec_b32 s24, s43
	s_delay_alu instid0(SALU_CYCLE_1)
	s_xor_b32 s24, exec_lo, s24
	s_cbranch_execz .LBB6_167
; %bb.166:                              ;   in Loop: Header=BB6_57 Depth=2
	ds_store_b32 v0, v89
	s_trap 2
.LBB6_167:                              ;   in Loop: Header=BB6_57 Depth=2
	s_or_b32 exec_lo, exec_lo, s21
	;;#ASMSTART
	s_wakeup
	;;#ASMEND
.LBB6_168:                              ;   in Loop: Header=BB6_57 Depth=2
	s_or_b32 exec_lo, exec_lo, s20
.LBB6_169:                              ;   in Loop: Header=BB6_57 Depth=2
	s_and_not1_saveexec_b32 s19, s19
	s_cbranch_execz .LBB6_171
; %bb.170:                              ;   in Loop: Header=BB6_57 Depth=2
	global_wb scope:SCOPE_DEV
	s_wait_storecnt 0x0
	s_wait_loadcnt_dscnt 0x0
	global_inv scope:SCOPE_DEV
	s_barrier_signal -1
	s_barrier_wait -1
.LBB6_171:                              ;   in Loop: Header=BB6_57 Depth=2
	s_or_b32 exec_lo, exec_lo, s19
	s_delay_alu instid0(SALU_CYCLE_1) | instskip(SKIP_1) | instid1(SALU_CYCLE_1)
	s_or_b32 exec_lo, exec_lo, s18
                                        ; implicit-def: $vgpr9
	s_and_saveexec_b32 s18, s12
	s_xor_b32 s18, exec_lo, s18
	s_cbranch_execnz .LBB6_131
.LBB6_172:                              ;   in Loop: Header=BB6_57 Depth=2
	s_and_not1_saveexec_b32 s13, s18
	s_cbranch_execz .LBB6_191
.LBB6_173:                              ;   in Loop: Header=BB6_57 Depth=2
	s_and_saveexec_b32 s18, s3
	s_delay_alu instid0(SALU_CYCLE_1)
	s_xor_b32 s18, exec_lo, s18
	s_cbranch_execz .LBB6_188
; %bb.174:                              ;   in Loop: Header=BB6_57 Depth=2
	s_and_saveexec_b32 s19, s6
	s_cbranch_execz .LBB6_187
; %bb.175:                              ;   in Loop: Header=BB6_57 Depth=2
	s_mov_b32 s21, exec_lo
	s_mov_b32 s20, exec_lo
	v_mbcnt_lo_u32_b32 v4, s21, 0
	;;#ASMSTART
	s_waitcnt lgkmcnt(0) vmcnt(0)
	;;#ASMEND
	s_delay_alu instid0(VALU_DEP_1)
	v_cmpx_eq_u32_e32 0, v4
	s_cbranch_execz .LBB6_177
; %bb.176:                              ;   in Loop: Header=BB6_57 Depth=2
	s_bcnt1_i32_b32 s21, s21
	s_delay_alu instid0(SALU_CYCLE_1)
	v_dual_mov_b32 v5, v2 :: v_dual_mov_b32 v4, s21
	s_wait_storecnt 0x0
	s_wait_loadcnt_dscnt 0x0
	ds_add_u64 v0, v[4:5]
	s_trap 2
.LBB6_177:                              ;   in Loop: Header=BB6_57 Depth=2
	s_or_b32 exec_lo, exec_lo, s20
	s_trap 2
	ds_load_b64 v[4:5], v0
	s_wait_dscnt 0x0
	v_add_nc_u64_e32 v[36:37], v[36:37], v[48:49]
	s_mov_b32 s20, exec_lo
	s_delay_alu instid0(VALU_DEP_1)
	v_cmpx_lt_u64_e64 v[4:5], v[36:37]
	s_cbranch_execz .LBB6_186
; %bb.178:                              ;   in Loop: Header=BB6_57 Depth=2
	s_mov_b32 s21, 0
	s_mov_b32 s72, 0
                                        ; implicit-def: $sgpr24
                                        ; implicit-def: $sgpr43
	s_branch .LBB6_180
.LBB6_179:                              ;   in Loop: Header=BB6_180 Depth=3
	s_or_b32 exec_lo, exec_lo, s74
	s_delay_alu instid0(SALU_CYCLE_1) | instskip(NEXT) | instid1(SALU_CYCLE_1)
	s_and_b32 s73, exec_lo, s75
	s_or_b32 s21, s73, s21
	s_and_not1_b32 s24, s24, exec_lo
	s_and_b32 s73, s43, exec_lo
	s_delay_alu instid0(SALU_CYCLE_1)
	s_or_b32 s24, s24, s73
	s_and_not1_b32 exec_lo, exec_lo, s21
	s_cbranch_execz .LBB6_184
.LBB6_180:                              ;   Parent Loop BB6_47 Depth=1
                                        ;     Parent Loop BB6_57 Depth=2
                                        ; =>    This Inner Loop Header: Depth=3
	s_add_co_i32 s72, s72, 1
	s_delay_alu instid0(SALU_CYCLE_1) | instskip(SKIP_1) | instid1(SALU_CYCLE_1)
	s_cmp_lg_u32 s72, 0x2710
	s_cselect_b32 s73, -1, 0
	s_and_b32 vcc_lo, exec_lo, s73
	s_cbranch_vccz .LBB6_182
; %bb.181:                              ;   in Loop: Header=BB6_180 Depth=3
	s_mov_b32 s75, -1
	s_or_b32 s43, s43, exec_lo
	s_and_saveexec_b32 s74, s73
	s_cbranch_execz .LBB6_179
	s_branch .LBB6_183
.LBB6_182:                              ;   in Loop: Header=BB6_180 Depth=3
	s_trap 2
	ds_load_b64 v[4:5], v0
	s_and_not1_b32 s73, s73, exec_lo
	s_mov_b32 s72, 0
	s_wait_storecnt 0x0
	s_wait_loadcnt_dscnt 0x0
	flat_load_b32 v4, v[4:5] scope:SCOPE_SYS
	s_wait_loadcnt_dscnt 0x0
	global_inv scope:SCOPE_SYS
	v_cmp_eq_u32_e32 vcc_lo, 0, v4
	s_and_b32 s74, vcc_lo, exec_lo
	s_delay_alu instid0(SALU_CYCLE_1)
	s_or_b32 s73, s73, s74
	s_mov_b32 s75, -1
	s_or_b32 s43, s43, exec_lo
	s_and_saveexec_b32 s74, s73
	s_cbranch_execz .LBB6_179
.LBB6_183:                              ;   in Loop: Header=BB6_180 Depth=3
	s_sleep 1
	s_trap 2
	ds_load_b64 v[4:5], v0
	s_wait_dscnt 0x0
	s_and_not1_b32 s43, s43, exec_lo
	v_cmp_ge_u64_e32 vcc_lo, v[4:5], v[36:37]
	s_or_not1_b32 s75, vcc_lo, exec_lo
	s_branch .LBB6_179
.LBB6_184:                              ;   in Loop: Header=BB6_57 Depth=2
	s_or_b32 exec_lo, exec_lo, s21
	s_and_saveexec_b32 s21, s24
	s_delay_alu instid0(SALU_CYCLE_1)
	s_xor_b32 s21, exec_lo, s21
	s_cbranch_execz .LBB6_186
; %bb.185:                              ;   in Loop: Header=BB6_57 Depth=2
	ds_store_b32 v0, v89
	s_trap 2
.LBB6_186:                              ;   in Loop: Header=BB6_57 Depth=2
	s_or_b32 exec_lo, exec_lo, s20
	;;#ASMSTART
	s_wakeup
	;;#ASMEND
.LBB6_187:                              ;   in Loop: Header=BB6_57 Depth=2
	s_or_b32 exec_lo, exec_lo, s19
.LBB6_188:                              ;   in Loop: Header=BB6_57 Depth=2
	s_and_not1_saveexec_b32 s18, s18
	s_cbranch_execz .LBB6_190
; %bb.189:                              ;   in Loop: Header=BB6_57 Depth=2
	;;#ASMSTART
	s_waitcnt lgkmcnt(0) vmcnt(0)
	;;#ASMEND
	s_barrier_signal -1
	s_barrier_wait -1
.LBB6_190:                              ;   in Loop: Header=BB6_57 Depth=2
	s_or_b32 exec_lo, exec_lo, s18
	v_and_b32_e32 v9, 16, v30
.LBB6_191:                              ;   in Loop: Header=BB6_57 Depth=2
	s_or_b32 exec_lo, exec_lo, s13
	s_delay_alu instid0(SALU_CYCLE_1) | instskip(NEXT) | instid1(VALU_DEP_1)
	s_mov_b32 s13, exec_lo
	v_cmpx_ne_u32_e32 0, v9
	s_cbranch_execz .LBB6_56
; %bb.192:                              ;   in Loop: Header=BB6_57 Depth=2
	s_and_saveexec_b32 s18, s5
	s_cbranch_execz .LBB6_55
; %bb.193:                              ;   in Loop: Header=BB6_57 Depth=2
	global_wb scope:SCOPE_SYS
	s_wait_storecnt 0x0
	s_wait_loadcnt_dscnt 0x0
	flat_store_b32 v[34:35], v89 scope:SCOPE_SYS
	s_branch .LBB6_55
.LBB6_194:                              ;   in Loop: Header=BB6_47 Depth=1
	s_or_b32 exec_lo, exec_lo, s15
.LBB6_195:                              ;   in Loop: Header=BB6_47 Depth=1
	s_delay_alu instid0(SALU_CYCLE_1) | instskip(NEXT) | instid1(SALU_CYCLE_1)
	s_or_b32 exec_lo, exec_lo, s14
	s_mov_b32 s14, exec_lo
	v_cmpx_gt_i32_e32 2, v9
	s_cbranch_execz .LBB6_269
; %bb.196:                              ;   in Loop: Header=BB6_47 Depth=1
	v_cmp_eq_u32_e64 s16, 0, v9
	s_mov_b32 s15, 0
	s_branch .LBB6_199
.LBB6_197:                              ;   in Loop: Header=BB6_199 Depth=2
	s_wait_xcnt 0x0
	s_or_b32 exec_lo, exec_lo, s16
	v_add_nc_u64_e32 v[112:113], 2, v[112:113]
	global_wb scope:SCOPE_SYS
	s_wait_storecnt 0x0
	s_wait_loadcnt_dscnt 0x0
	flat_store_b64 v[26:27], v[112:113] scope:SCOPE_SYS
.LBB6_198:                              ;   in Loop: Header=BB6_199 Depth=2
	s_wait_xcnt 0x0
	s_or_b32 exec_lo, exec_lo, s13
	v_add_nc_u32_e32 v10, v8, v10
	s_mov_b32 s16, 0
	s_and_not1_b32 exec_lo, exec_lo, s15
	s_cbranch_execz .LBB6_268
.LBB6_199:                              ;   Parent Loop BB6_47 Depth=1
                                        ; =>  This Loop Header: Depth=2
                                        ;       Child Loop BB6_205 Depth 3
                                        ;       Child Loop BB6_229 Depth 3
	;; [unrolled: 1-line block ×3, first 2 shown]
	s_delay_alu instid0(VALU_DEP_1) | instskip(SKIP_2) | instid1(VALU_DEP_2)
	v_sub_nc_u32_e32 v4, v3, v10
	v_and_b32_e32 v5, 8, v30
	s_mov_b32 s17, exec_lo
	v_min_i32_e32 v8, v8, v4
	s_delay_alu instid0(VALU_DEP_2)
	v_cmpx_ne_u32_e32 0, v5
	s_cbranch_execz .LBB6_221
; %bb.200:                              ;   in Loop: Header=BB6_199 Depth=2
	s_wait_loadcnt_dscnt 0x1
	v_add_nc_u64_e32 v[4:5], 8, v[38:39]
	v_add_nc_u64_e32 v[12:13], 2, v[112:113]
	s_mov_b32 s18, exec_lo
	s_delay_alu instid0(VALU_DEP_1)
	v_cmpx_lt_u64_e64 v[4:5], v[12:13]
	s_cbranch_execz .LBB6_212
; %bb.201:                              ;   in Loop: Header=BB6_199 Depth=2
	v_and_b32_e32 v4, 64, v30
	s_mov_b32 s19, 0
	s_mov_b32 s43, 0
                                        ; implicit-def: $sgpr20
                                        ; implicit-def: $sgpr21
                                        ; implicit-def: $sgpr24
	s_delay_alu instid0(VALU_DEP_1)
	v_cmp_eq_u32_e32 vcc_lo, 0, v4
	s_branch .LBB6_205
.LBB6_202:                              ;   in Loop: Header=BB6_205 Depth=3
	s_wait_loadcnt_dscnt 0x0
	v_add_nc_u64_e32 v[4:5], 8, v[38:39]
	s_or_b32 s74, s74, exec_lo
	s_delay_alu instid0(VALU_DEP_1)
	v_cmp_ge_u64_e64 s13, v[4:5], v[12:13]
	s_or_not1_b32 s73, s13, exec_lo
.LBB6_203:                              ;   in Loop: Header=BB6_205 Depth=3
	s_or_b32 exec_lo, exec_lo, s76
	s_delay_alu instid0(SALU_CYCLE_1)
	s_and_not1_b32 s13, s24, exec_lo
	s_and_b32 s24, s74, exec_lo
	s_and_not1_b32 s21, s21, exec_lo
	s_and_b32 s73, s73, exec_lo
	s_or_b32 s24, s13, s24
	s_or_b32 s21, s21, s73
.LBB6_204:                              ;   in Loop: Header=BB6_205 Depth=3
	s_or_b32 exec_lo, exec_lo, s72
	s_delay_alu instid0(SALU_CYCLE_1) | instskip(NEXT) | instid1(SALU_CYCLE_1)
	s_and_b32 s13, exec_lo, s21
	s_or_b32 s19, s13, s19
	s_and_not1_b32 s13, s20, exec_lo
	s_and_b32 s20, s24, exec_lo
	s_delay_alu instid0(SALU_CYCLE_1)
	s_or_b32 s20, s13, s20
	s_and_not1_b32 exec_lo, exec_lo, s19
	s_cbranch_execz .LBB6_209
.LBB6_205:                              ;   Parent Loop BB6_47 Depth=1
                                        ;     Parent Loop BB6_199 Depth=2
                                        ; =>    This Inner Loop Header: Depth=3
	s_sleep 1
	s_wait_loadcnt_dscnt 0x0
	flat_load_b64 v[38:39], v[26:27] scope:SCOPE_SYS
	s_or_b32 s24, s24, exec_lo
	s_or_b32 s21, s21, exec_lo
                                        ; implicit-def: $vgpr9
	s_wait_xcnt 0x0
	s_and_saveexec_b32 s72, vcc_lo
	s_cbranch_execz .LBB6_204
; %bb.206:                              ;   in Loop: Header=BB6_205 Depth=3
	s_cmp_lt_i32 s43, 0x270f
	s_mov_b32 s73, -1
	s_cselect_b32 s75, -1, 0
	s_cmp_gt_i32 s43, 0x270e
	s_cbranch_scc0 .LBB6_208
; %bb.207:                              ;   in Loop: Header=BB6_205 Depth=3
	s_trap 2
	ds_load_b64 v[4:5], v0
	s_and_not1_b32 s43, s75, exec_lo
	s_mov_b32 s74, 0
	s_wait_storecnt 0x0
	s_wait_loadcnt_dscnt 0x0
	flat_load_b32 v9, v[4:5] scope:SCOPE_SYS
	s_wait_loadcnt_dscnt 0x0
	global_inv scope:SCOPE_SYS
	v_cmp_eq_u32_e64 s13, 0, v9
	s_and_b32 s13, s13, exec_lo
	s_delay_alu instid0(SALU_CYCLE_1)
	s_or_b32 s75, s43, s13
	s_mov_b32 s43, 0
	s_and_saveexec_b32 s76, s75
	s_cbranch_execz .LBB6_203
	s_branch .LBB6_202
.LBB6_208:                              ;   in Loop: Header=BB6_205 Depth=3
	s_add_co_i32 s43, s43, 1
	s_mov_b32 s74, -1
                                        ; implicit-def: $vgpr9
	s_and_saveexec_b32 s76, s75
	s_cbranch_execz .LBB6_203
	s_branch .LBB6_202
.LBB6_209:                              ;   in Loop: Header=BB6_199 Depth=2
	s_or_b32 exec_lo, exec_lo, s19
	s_xor_b32 s13, s20, -1
	s_delay_alu instid0(SALU_CYCLE_1) | instskip(NEXT) | instid1(SALU_CYCLE_1)
	s_and_saveexec_b32 s19, s13
	s_xor_b32 s13, exec_lo, s19
	s_cbranch_execz .LBB6_211
; %bb.210:                              ;   in Loop: Header=BB6_199 Depth=2
	v_or_b32_e32 v30, 64, v30
	s_wait_storecnt 0x0
	s_wait_loadcnt_dscnt 0x0
	ds_store_b32 v0, v9
	s_trap 2
.LBB6_211:                              ;   in Loop: Header=BB6_199 Depth=2
	s_or_b32 exec_lo, exec_lo, s13
.LBB6_212:                              ;   in Loop: Header=BB6_199 Depth=2
	s_delay_alu instid0(SALU_CYCLE_1) | instskip(SKIP_4) | instid1(VALU_DEP_1)
	s_or_b32 exec_lo, exec_lo, s18
	v_and_b32_e32 v4, 0x100, v30
	s_mov_b32 s18, 0
	s_mov_b32 s13, exec_lo
	;;#ASMSTART
	s_wakeup
	;;#ASMEND
                                        ; implicit-def: $vgpr14_vgpr15
                                        ; implicit-def: $vgpr16_vgpr17
	v_cmpx_ne_u32_e32 0, v4
	s_xor_b32 s13, exec_lo, s13
	s_cbranch_execz .LBB6_233
; %bb.213:                              ;   in Loop: Header=BB6_199 Depth=2
	v_and_b32_e32 v14, 7, v112
	v_ashrrev_i32_e32 v9, 31, v8
	s_mov_b32 s18, -1
	s_mov_b32 s19, exec_lo
                                        ; implicit-def: $vgpr16_vgpr17
	s_delay_alu instid0(VALU_DEP_2) | instskip(NEXT) | instid1(VALU_DEP_2)
	v_mad_nc_u64_u32 v[18:19], v14, 24, v[6:7]
	v_lshlrev_b64_e32 v[4:5], 2, v[8:9]
	s_clause 0x1
	flat_load_b32 v11, v[18:19]
	flat_store_b64 v[18:19], v[4:5] offset:8
	s_wait_loadcnt_dscnt 0x1
	v_cmpx_eq_u32_e32 1, v11
	s_cbranch_execz .LBB6_215
; %bb.214:                              ;   in Loop: Header=BB6_199 Depth=2
	flat_load_b32 v4, v[18:19] offset:4 scope:SCOPE_SYS
	s_xor_b32 s18, exec_lo, -1
	s_wait_loadcnt_dscnt 0x0
	v_ashrrev_i32_e32 v5, 31, v4
	s_delay_alu instid0(VALU_DEP_1)
	v_lshrrev_b64 v[16:17], 2, v[4:5]
.LBB6_215:                              ;   in Loop: Header=BB6_199 Depth=2
	s_wait_xcnt 0x0
	s_or_b32 exec_lo, exec_lo, s19
	v_mov_b32_e32 v15, v2
	s_and_b32 s18, s18, exec_lo
                                        ; implicit-def: $vgpr112_vgpr113
	s_and_not1_saveexec_b32 s13, s13
	s_cbranch_execnz .LBB6_234
.LBB6_216:                              ;   in Loop: Header=BB6_199 Depth=2
	s_or_b32 exec_lo, exec_lo, s13
	s_and_saveexec_b32 s13, s18
.LBB6_217:                              ;   in Loop: Header=BB6_199 Depth=2
	v_mul_u64_e32 v[16:17], v[14:15], v[28:29]
.LBB6_218:                              ;   in Loop: Header=BB6_199 Depth=2
	s_or_b32 exec_lo, exec_lo, s13
	v_and_b32_e32 v9, 0x2000, v30
	s_delay_alu instid0(VALU_DEP_2)
	v_lshl_add_u64 v[4:5], v[16:17], 2, v[32:33]
	s_mov_b32 s13, exec_lo
	ds_store_b64 v0, v[4:5] offset:784
	v_cmpx_ne_u32_e32 0, v9
	s_cbranch_execz .LBB6_220
; %bb.219:                              ;   in Loop: Header=BB6_199 Depth=2
	ds_load_b64 v[4:5], v0 offset:872
	s_wait_dscnt 0x0
	v_add_nc_u64_e32 v[4:5], 1, v[4:5]
	ds_store_b64 v0, v[4:5] offset:872
.LBB6_220:                              ;   in Loop: Header=BB6_199 Depth=2
	s_or_b32 exec_lo, exec_lo, s13
	v_mov_b64_e32 v[112:113], v[12:13]
.LBB6_221:                              ;   in Loop: Header=BB6_199 Depth=2
	s_or_b32 exec_lo, exec_lo, s17
	s_xor_b32 s13, s16, -1
	s_delay_alu instid0(SALU_CYCLE_1) | instskip(NEXT) | instid1(SALU_CYCLE_1)
	s_and_b32 s13, exec_lo, s13
	s_or_b32 s15, s13, s15
	s_and_saveexec_b32 s13, s2
	s_cbranch_execz .LBB6_242
; %bb.222:                              ;   in Loop: Header=BB6_199 Depth=2
	s_and_saveexec_b32 s16, s3
	s_delay_alu instid0(SALU_CYCLE_1)
	s_xor_b32 s16, exec_lo, s16
	s_cbranch_execz .LBB6_239
; %bb.223:                              ;   in Loop: Header=BB6_199 Depth=2
	s_and_saveexec_b32 s17, s6
	s_cbranch_execz .LBB6_238
; %bb.224:                              ;   in Loop: Header=BB6_199 Depth=2
	s_mov_b32 s19, exec_lo
	s_mov_b32 s18, exec_lo
	v_mbcnt_lo_u32_b32 v4, s19, 0
	global_wb scope:SCOPE_DEV
	s_wait_storecnt 0x0
	s_wait_loadcnt_dscnt 0x0
	global_inv scope:SCOPE_DEV
	v_cmpx_eq_u32_e32 0, v4
	s_cbranch_execz .LBB6_226
; %bb.225:                              ;   in Loop: Header=BB6_199 Depth=2
	s_bcnt1_i32_b32 s19, s19
	s_delay_alu instid0(SALU_CYCLE_1)
	v_dual_mov_b32 v5, v2 :: v_dual_mov_b32 v4, s19
	s_wait_loadcnt 0x0
	ds_add_u64 v0, v[4:5]
	s_trap 2
.LBB6_226:                              ;   in Loop: Header=BB6_199 Depth=2
	s_or_b32 exec_lo, exec_lo, s18
	s_trap 2
	ds_load_b64 v[4:5], v0
	s_wait_dscnt 0x0
	v_add_nc_u64_e32 v[36:37], v[36:37], v[48:49]
	s_mov_b32 s18, exec_lo
	s_delay_alu instid0(VALU_DEP_1)
	v_cmpx_lt_u64_e64 v[4:5], v[36:37]
	s_cbranch_execz .LBB6_237
; %bb.227:                              ;   in Loop: Header=BB6_199 Depth=2
	s_mov_b32 s19, 0
	s_mov_b32 s24, 0
                                        ; implicit-def: $sgpr20
                                        ; implicit-def: $sgpr21
	s_branch .LBB6_229
.LBB6_228:                              ;   in Loop: Header=BB6_229 Depth=3
	s_or_b32 exec_lo, exec_lo, s72
	s_delay_alu instid0(SALU_CYCLE_1) | instskip(NEXT) | instid1(SALU_CYCLE_1)
	s_and_b32 s43, exec_lo, s73
	s_or_b32 s19, s43, s19
	s_and_not1_b32 s20, s20, exec_lo
	s_and_b32 s43, s21, exec_lo
	s_delay_alu instid0(SALU_CYCLE_1)
	s_or_b32 s20, s20, s43
	s_and_not1_b32 exec_lo, exec_lo, s19
	s_cbranch_execz .LBB6_235
.LBB6_229:                              ;   Parent Loop BB6_47 Depth=1
                                        ;     Parent Loop BB6_199 Depth=2
                                        ; =>    This Inner Loop Header: Depth=3
	s_add_co_i32 s24, s24, 1
	s_delay_alu instid0(SALU_CYCLE_1) | instskip(SKIP_1) | instid1(SALU_CYCLE_1)
	s_cmp_lg_u32 s24, 0x2710
	s_cselect_b32 s43, -1, 0
	s_and_b32 vcc_lo, exec_lo, s43
	s_cbranch_vccz .LBB6_231
; %bb.230:                              ;   in Loop: Header=BB6_229 Depth=3
	s_mov_b32 s73, -1
	s_or_b32 s21, s21, exec_lo
	s_and_saveexec_b32 s72, s43
	s_cbranch_execz .LBB6_228
	s_branch .LBB6_232
.LBB6_231:                              ;   in Loop: Header=BB6_229 Depth=3
	s_trap 2
	ds_load_b64 v[4:5], v0
	s_and_not1_b32 s43, s43, exec_lo
	s_mov_b32 s24, 0
	s_wait_loadcnt_dscnt 0x0
	flat_load_b32 v4, v[4:5] scope:SCOPE_SYS
	s_wait_loadcnt_dscnt 0x0
	global_inv scope:SCOPE_SYS
	v_cmp_eq_u32_e32 vcc_lo, 0, v4
	s_and_b32 s72, vcc_lo, exec_lo
	s_delay_alu instid0(SALU_CYCLE_1)
	s_or_b32 s43, s43, s72
	s_mov_b32 s73, -1
	s_or_b32 s21, s21, exec_lo
	s_and_saveexec_b32 s72, s43
	s_cbranch_execz .LBB6_228
.LBB6_232:                              ;   in Loop: Header=BB6_229 Depth=3
	s_sleep 1
	s_trap 2
	ds_load_b64 v[4:5], v0
	s_wait_dscnt 0x0
	s_and_not1_b32 s21, s21, exec_lo
	v_cmp_ge_u64_e32 vcc_lo, v[4:5], v[36:37]
	s_or_not1_b32 s73, vcc_lo, exec_lo
	s_branch .LBB6_228
.LBB6_233:                              ;   in Loop: Header=BB6_199 Depth=2
	s_and_not1_saveexec_b32 s13, s13
	s_cbranch_execz .LBB6_216
.LBB6_234:                              ;   in Loop: Header=BB6_199 Depth=2
	v_dual_mov_b32 v15, v2 :: v_dual_bitop2_b32 v14, 7, v112 bitop3:0x40
	s_or_b32 s18, s18, exec_lo
	s_or_b32 exec_lo, exec_lo, s13
	s_and_saveexec_b32 s13, s18
	s_cbranch_execnz .LBB6_217
	s_branch .LBB6_218
.LBB6_235:                              ;   in Loop: Header=BB6_199 Depth=2
	s_or_b32 exec_lo, exec_lo, s19
	s_and_saveexec_b32 s19, s20
	s_delay_alu instid0(SALU_CYCLE_1)
	s_xor_b32 s19, exec_lo, s19
	s_cbranch_execz .LBB6_237
; %bb.236:                              ;   in Loop: Header=BB6_199 Depth=2
	ds_store_b32 v0, v89
	s_trap 2
.LBB6_237:                              ;   in Loop: Header=BB6_199 Depth=2
	s_or_b32 exec_lo, exec_lo, s18
	;;#ASMSTART
	s_wakeup
	;;#ASMEND
.LBB6_238:                              ;   in Loop: Header=BB6_199 Depth=2
	s_or_b32 exec_lo, exec_lo, s17
.LBB6_239:                              ;   in Loop: Header=BB6_199 Depth=2
	s_and_not1_saveexec_b32 s16, s16
	s_cbranch_execz .LBB6_241
; %bb.240:                              ;   in Loop: Header=BB6_199 Depth=2
	global_wb scope:SCOPE_DEV
	s_wait_storecnt 0x0
	s_wait_loadcnt_dscnt 0x0
	global_inv scope:SCOPE_DEV
	s_barrier_signal -1
	s_barrier_wait -1
.LBB6_241:                              ;   in Loop: Header=BB6_199 Depth=2
	s_or_b32 exec_lo, exec_lo, s16
.LBB6_242:                              ;   in Loop: Header=BB6_199 Depth=2
	s_delay_alu instid0(SALU_CYCLE_1) | instskip(SKIP_1) | instid1(SALU_CYCLE_1)
	s_or_b32 exec_lo, exec_lo, s13
                                        ; implicit-def: $vgpr9
	s_and_saveexec_b32 s13, s12
	s_xor_b32 s16, exec_lo, s13
	s_cbranch_execz .LBB6_246
; %bb.243:                              ;   in Loop: Header=BB6_199 Depth=2
	s_trap 2
	ds_load_b32 v4, v0
	v_cmp_lt_i32_e32 vcc_lo, 0, v8
	v_and_b32_e32 v9, 16, v30
	s_wait_dscnt 0x0
	v_readfirstlane_b32 s13, v4
	v_and_b32_e32 v4, 16, v30
	s_cmp_eq_u32 s13, 0
	s_delay_alu instid0(VALU_DEP_1) | instskip(SKIP_1) | instid1(SALU_CYCLE_1)
	v_cmp_ne_u32_e64 s13, 0, v4
	s_cselect_b32 s17, -1, 0
	s_and_b32 s17, vcc_lo, s17
	s_delay_alu instid0(SALU_CYCLE_1) | instskip(NEXT) | instid1(SALU_CYCLE_1)
	s_and_b32 s17, s13, s17
	s_and_saveexec_b32 s13, s17
	s_cbranch_execz .LBB6_245
; %bb.244:                              ;   in Loop: Header=BB6_199 Depth=2
	v_mov_b32_e32 v9, 1
	global_wb scope:SCOPE_SYS
	s_wait_loadcnt 0x0
	s_wait_storecnt 0x0
	global_inv scope:SCOPE_SYS
.LBB6_245:                              ;   in Loop: Header=BB6_199 Depth=2
	s_or_b32 exec_lo, exec_lo, s13
	s_and_not1_saveexec_b32 s13, s16
	s_cbranch_execz .LBB6_265
	s_branch .LBB6_247
.LBB6_246:                              ;   in Loop: Header=BB6_199 Depth=2
	s_and_not1_saveexec_b32 s13, s16
	s_cbranch_execz .LBB6_265
.LBB6_247:                              ;   in Loop: Header=BB6_199 Depth=2
	s_and_saveexec_b32 s16, s3
	s_delay_alu instid0(SALU_CYCLE_1)
	s_xor_b32 s16, exec_lo, s16
	s_cbranch_execz .LBB6_262
; %bb.248:                              ;   in Loop: Header=BB6_199 Depth=2
	s_and_saveexec_b32 s17, s6
	s_cbranch_execz .LBB6_261
; %bb.249:                              ;   in Loop: Header=BB6_199 Depth=2
	s_mov_b32 s19, exec_lo
	s_mov_b32 s18, exec_lo
	v_mbcnt_lo_u32_b32 v4, s19, 0
	;;#ASMSTART
	s_waitcnt lgkmcnt(0) vmcnt(0)
	;;#ASMEND
	s_delay_alu instid0(VALU_DEP_1)
	v_cmpx_eq_u32_e32 0, v4
	s_cbranch_execz .LBB6_251
; %bb.250:                              ;   in Loop: Header=BB6_199 Depth=2
	s_bcnt1_i32_b32 s19, s19
	s_delay_alu instid0(SALU_CYCLE_1)
	v_dual_mov_b32 v5, v2 :: v_dual_mov_b32 v4, s19
	s_wait_storecnt 0x0
	s_wait_loadcnt_dscnt 0x0
	ds_add_u64 v0, v[4:5]
	s_trap 2
.LBB6_251:                              ;   in Loop: Header=BB6_199 Depth=2
	s_or_b32 exec_lo, exec_lo, s18
	s_trap 2
	ds_load_b64 v[4:5], v0
	s_wait_dscnt 0x0
	v_add_nc_u64_e32 v[36:37], v[36:37], v[48:49]
	s_mov_b32 s18, exec_lo
	s_delay_alu instid0(VALU_DEP_1)
	v_cmpx_lt_u64_e64 v[4:5], v[36:37]
	s_cbranch_execz .LBB6_260
; %bb.252:                              ;   in Loop: Header=BB6_199 Depth=2
	s_mov_b32 s19, 0
	s_mov_b32 s24, 0
                                        ; implicit-def: $sgpr20
                                        ; implicit-def: $sgpr21
	s_branch .LBB6_254
.LBB6_253:                              ;   in Loop: Header=BB6_254 Depth=3
	s_or_b32 exec_lo, exec_lo, s72
	s_delay_alu instid0(SALU_CYCLE_1) | instskip(NEXT) | instid1(SALU_CYCLE_1)
	s_and_b32 s43, exec_lo, s73
	s_or_b32 s19, s43, s19
	s_and_not1_b32 s20, s20, exec_lo
	s_and_b32 s43, s21, exec_lo
	s_delay_alu instid0(SALU_CYCLE_1)
	s_or_b32 s20, s20, s43
	s_and_not1_b32 exec_lo, exec_lo, s19
	s_cbranch_execz .LBB6_258
.LBB6_254:                              ;   Parent Loop BB6_47 Depth=1
                                        ;     Parent Loop BB6_199 Depth=2
                                        ; =>    This Inner Loop Header: Depth=3
	s_add_co_i32 s24, s24, 1
	s_delay_alu instid0(SALU_CYCLE_1) | instskip(SKIP_1) | instid1(SALU_CYCLE_1)
	s_cmp_lg_u32 s24, 0x2710
	s_cselect_b32 s43, -1, 0
	s_and_b32 vcc_lo, exec_lo, s43
	s_cbranch_vccz .LBB6_256
; %bb.255:                              ;   in Loop: Header=BB6_254 Depth=3
	s_mov_b32 s73, -1
	s_or_b32 s21, s21, exec_lo
	s_and_saveexec_b32 s72, s43
	s_cbranch_execz .LBB6_253
	s_branch .LBB6_257
.LBB6_256:                              ;   in Loop: Header=BB6_254 Depth=3
	s_trap 2
	ds_load_b64 v[4:5], v0
	s_and_not1_b32 s43, s43, exec_lo
	s_mov_b32 s24, 0
	s_wait_storecnt 0x0
	s_wait_loadcnt_dscnt 0x0
	flat_load_b32 v4, v[4:5] scope:SCOPE_SYS
	s_wait_loadcnt_dscnt 0x0
	global_inv scope:SCOPE_SYS
	v_cmp_eq_u32_e32 vcc_lo, 0, v4
	s_and_b32 s72, vcc_lo, exec_lo
	s_delay_alu instid0(SALU_CYCLE_1)
	s_or_b32 s43, s43, s72
	s_mov_b32 s73, -1
	s_or_b32 s21, s21, exec_lo
	s_and_saveexec_b32 s72, s43
	s_cbranch_execz .LBB6_253
.LBB6_257:                              ;   in Loop: Header=BB6_254 Depth=3
	s_sleep 1
	s_trap 2
	ds_load_b64 v[4:5], v0
	s_wait_dscnt 0x0
	s_and_not1_b32 s21, s21, exec_lo
	v_cmp_ge_u64_e32 vcc_lo, v[4:5], v[36:37]
	s_or_not1_b32 s73, vcc_lo, exec_lo
	s_branch .LBB6_253
.LBB6_258:                              ;   in Loop: Header=BB6_199 Depth=2
	s_or_b32 exec_lo, exec_lo, s19
	s_and_saveexec_b32 s19, s20
	s_delay_alu instid0(SALU_CYCLE_1)
	s_xor_b32 s19, exec_lo, s19
	s_cbranch_execz .LBB6_260
; %bb.259:                              ;   in Loop: Header=BB6_199 Depth=2
	ds_store_b32 v0, v89
	s_trap 2
.LBB6_260:                              ;   in Loop: Header=BB6_199 Depth=2
	s_or_b32 exec_lo, exec_lo, s18
	;;#ASMSTART
	s_wakeup
	;;#ASMEND
.LBB6_261:                              ;   in Loop: Header=BB6_199 Depth=2
	s_or_b32 exec_lo, exec_lo, s17
.LBB6_262:                              ;   in Loop: Header=BB6_199 Depth=2
	s_and_not1_saveexec_b32 s16, s16
	s_cbranch_execz .LBB6_264
; %bb.263:                              ;   in Loop: Header=BB6_199 Depth=2
	;;#ASMSTART
	s_waitcnt lgkmcnt(0) vmcnt(0)
	;;#ASMEND
	s_barrier_signal -1
	s_barrier_wait -1
.LBB6_264:                              ;   in Loop: Header=BB6_199 Depth=2
	s_or_b32 exec_lo, exec_lo, s16
	v_and_b32_e32 v9, 16, v30
.LBB6_265:                              ;   in Loop: Header=BB6_199 Depth=2
	s_or_b32 exec_lo, exec_lo, s13
	s_delay_alu instid0(SALU_CYCLE_1) | instskip(NEXT) | instid1(VALU_DEP_1)
	s_mov_b32 s13, exec_lo
	v_cmpx_ne_u32_e32 0, v9
	s_cbranch_execz .LBB6_198
; %bb.266:                              ;   in Loop: Header=BB6_199 Depth=2
	s_and_saveexec_b32 s16, s5
	s_cbranch_execz .LBB6_197
; %bb.267:                              ;   in Loop: Header=BB6_199 Depth=2
	global_wb scope:SCOPE_SYS
	s_wait_storecnt 0x0
	s_wait_loadcnt_dscnt 0x0
	flat_store_b32 v[34:35], v89 scope:SCOPE_SYS
	s_branch .LBB6_197
.LBB6_268:                              ;   in Loop: Header=BB6_47 Depth=1
	s_or_b32 exec_lo, exec_lo, s15
.LBB6_269:                              ;   in Loop: Header=BB6_47 Depth=1
	s_delay_alu instid0(SALU_CYCLE_1) | instskip(NEXT) | instid1(SALU_CYCLE_1)
	s_or_b32 exec_lo, exec_lo, s14
	s_and_not1_b32 vcc_lo, exec_lo, s58
	s_cbranch_vccnz .LBB6_492
; %bb.270:                              ;   in Loop: Header=BB6_47 Depth=1
	s_mov_b32 s14, 2
	s_branch .LBB6_273
.LBB6_271:                              ;   in Loop: Header=BB6_273 Depth=2
	s_or_b32 exec_lo, exec_lo, s16
.LBB6_272:                              ;   in Loop: Header=BB6_273 Depth=2
	s_delay_alu instid0(SALU_CYCLE_1) | instskip(SKIP_1) | instid1(SALU_CYCLE_1)
	s_or_b32 exec_lo, exec_lo, s15
	s_add_co_i32 s14, s14, 1
	s_cmp_eq_u32 s14, s22
	s_cbranch_scc1 .LBB6_492
.LBB6_273:                              ;   Parent Loop BB6_47 Depth=1
                                        ; =>  This Loop Header: Depth=2
                                        ;       Child Loop BB6_276 Depth 3
                                        ;         Child Loop BB6_284 Depth 4
                                        ;         Child Loop BB6_312 Depth 4
	;; [unrolled: 1-line block ×9, first 2 shown]
                                        ;       Child Loop BB6_420 Depth 3
                                        ;         Child Loop BB6_426 Depth 4
                                        ;         Child Loop BB6_454 Depth 4
	;; [unrolled: 1-line block ×3, first 2 shown]
	s_sub_co_i32 s13, s56, s14
	v_mov_b32_e32 v10, 0
	s_cmp_ge_i32 s13, s22
	s_cselect_b32 s15, s22, 0
	s_delay_alu instid0(SALU_CYCLE_1) | instskip(NEXT) | instid1(SALU_CYCLE_1)
	s_sub_co_i32 s16, s13, s15
	s_ashr_i32 s17, s16, 31
	s_delay_alu instid0(SALU_CYCLE_1) | instskip(SKIP_1) | instid1(VALU_DEP_1)
	v_mul_u64_e32 v[12:13], s[16:17], v[102:103]
	s_mov_b32 s16, 0
	v_sub_nc_u64_e32 v[4:5], v[114:115], v[12:13]
	s_delay_alu instid0(VALU_DEP_1) | instskip(NEXT) | instid1(VALU_DEP_1)
	v_min_i64 v[4:5], v[102:103], v[4:5]
	v_max_i32_e32 v42, 0, v4
	v_cmp_lt_i32_e32 vcc_lo, 0, v4
	s_delay_alu instid0(VALU_DEP_2) | instskip(SKIP_1) | instid1(VALU_DEP_1)
	v_add_nc_u32_e32 v3, 31, v42
	s_and_b32 s13, s61, vcc_lo
	v_lshrrev_b32_e32 v3, 1, v3
	s_delay_alu instid0(VALU_DEP_1) | instskip(NEXT) | instid1(VALU_DEP_1)
	v_and_b32_e32 v5, 0x3ffffff0, v3
	v_dual_mov_b32 v3, 0 :: v_dual_max_i32 v8, s57, v5
	s_and_saveexec_b32 s15, s13
	s_cbranch_execz .LBB6_417
; %bb.274:                              ;   in Loop: Header=BB6_273 Depth=2
	v_mov_b32_e32 v10, 0
	s_mov_b32 s18, 1
	s_mov_b32 s17, -1
	s_branch .LBB6_276
.LBB6_275:                              ;   in Loop: Header=BB6_276 Depth=3
	s_wait_xcnt 0x0
	s_or_b32 exec_lo, exec_lo, s13
	v_dual_mov_b32 v3, s18 :: v_dual_add_nc_u32 v10, v8, v10
	s_xor_b32 s13, s17, -1
	s_mov_b32 s17, 0
	s_mov_b32 s18, 2
	s_delay_alu instid0(VALU_DEP_1) | instskip(SKIP_1) | instid1(SALU_CYCLE_1)
	v_cmp_ge_i32_e32 vcc_lo, v10, v42
	s_or_b32 s13, s13, vcc_lo
	s_and_b32 s13, exec_lo, s13
	s_delay_alu instid0(SALU_CYCLE_1) | instskip(NEXT) | instid1(SALU_CYCLE_1)
	s_or_b32 s16, s13, s16
	s_and_not1_b32 exec_lo, exec_lo, s16
	s_cbranch_execz .LBB6_416
.LBB6_276:                              ;   Parent Loop BB6_47 Depth=1
                                        ;     Parent Loop BB6_273 Depth=2
                                        ; =>    This Loop Header: Depth=3
                                        ;         Child Loop BB6_284 Depth 4
                                        ;         Child Loop BB6_312 Depth 4
	;; [unrolled: 1-line block ×9, first 2 shown]
	s_and_saveexec_b32 s13, s0
	s_cbranch_execz .LBB6_278
; %bb.277:                              ;   in Loop: Header=BB6_276 Depth=3
	s_trap 2
	ds_load_b64 v[4:5], v0
	v_ashrrev_i32_e32 v11, 31, v10
	s_wait_dscnt 0x0
	v_lshl_add_u64 v[4:5], v[116:117], 2, v[4:5]
	s_delay_alu instid0(VALU_DEP_1) | instskip(NEXT) | instid1(VALU_DEP_1)
	v_lshl_add_u64 v[4:5], v[12:13], 2, v[4:5]
	v_lshl_add_u64 v[4:5], v[10:11], 2, v[4:5]
	ds_store_b64 v0, v[4:5]
	ds_store_b64 v0, v[20:21]
.LBB6_278:                              ;   in Loop: Header=BB6_276 Depth=3
	s_or_b32 exec_lo, exec_lo, s13
	v_sub_nc_u32_e32 v3, v42, v10
	v_and_b32_e32 v4, 12, v30
	s_mov_b32 s19, exec_lo
	s_delay_alu instid0(VALU_DEP_2) | instskip(NEXT) | instid1(VALU_DEP_2)
	v_min_i32_e32 v8, v8, v3
	v_cmpx_ne_u32_e32 0, v4
	s_cbranch_execz .LBB6_304
; %bb.279:                              ;   in Loop: Header=BB6_276 Depth=3
	v_dual_mov_b32 v17, v2 :: v_dual_bitop2_b32 v16, 8, v30 bitop3:0x40
	v_add_nc_u64_e32 v[14:15], 2, v[112:113]
	s_mov_b32 s20, exec_lo
	s_wait_loadcnt_dscnt 0x1
	s_delay_alu instid0(VALU_DEP_2) | instskip(NEXT) | instid1(VALU_DEP_1)
	v_add_nc_u64_e32 v[4:5], v[38:39], v[16:17]
	v_cmpx_lt_u64_e64 v[4:5], v[14:15]
	s_cbranch_execz .LBB6_291
; %bb.280:                              ;   in Loop: Header=BB6_276 Depth=3
	v_and_b32_e32 v3, 64, v30
	s_mov_b32 s21, 0
	s_mov_b32 s73, 0
                                        ; implicit-def: $sgpr24
                                        ; implicit-def: $sgpr43
                                        ; implicit-def: $sgpr72
	s_delay_alu instid0(VALU_DEP_1)
	v_cmp_eq_u32_e32 vcc_lo, 0, v3
	s_branch .LBB6_284
.LBB6_281:                              ;   in Loop: Header=BB6_284 Depth=4
	s_wait_loadcnt_dscnt 0x0
	v_add_nc_u64_e32 v[4:5], v[38:39], v[16:17]
	s_or_b32 s76, s76, exec_lo
	s_delay_alu instid0(VALU_DEP_1)
	v_cmp_ge_u64_e64 s13, v[4:5], v[14:15]
	s_or_not1_b32 s75, s13, exec_lo
.LBB6_282:                              ;   in Loop: Header=BB6_284 Depth=4
	s_or_b32 exec_lo, exec_lo, s78
	s_delay_alu instid0(SALU_CYCLE_1)
	s_and_not1_b32 s13, s72, exec_lo
	s_and_b32 s72, s76, exec_lo
	s_and_not1_b32 s43, s43, exec_lo
	s_and_b32 s75, s75, exec_lo
	s_or_b32 s72, s13, s72
	s_or_b32 s43, s43, s75
.LBB6_283:                              ;   in Loop: Header=BB6_284 Depth=4
	s_or_b32 exec_lo, exec_lo, s74
	s_delay_alu instid0(SALU_CYCLE_1) | instskip(NEXT) | instid1(SALU_CYCLE_1)
	s_and_b32 s13, exec_lo, s43
	s_or_b32 s21, s13, s21
	s_and_not1_b32 s13, s24, exec_lo
	s_and_b32 s24, s72, exec_lo
	s_delay_alu instid0(SALU_CYCLE_1)
	s_or_b32 s24, s13, s24
	s_and_not1_b32 exec_lo, exec_lo, s21
	s_cbranch_execz .LBB6_288
.LBB6_284:                              ;   Parent Loop BB6_47 Depth=1
                                        ;     Parent Loop BB6_273 Depth=2
                                        ;       Parent Loop BB6_276 Depth=3
                                        ; =>      This Inner Loop Header: Depth=4
	s_sleep 1
	s_wait_loadcnt_dscnt 0x0
	flat_load_b64 v[38:39], v[26:27] scope:SCOPE_SYS
	s_or_b32 s72, s72, exec_lo
	s_or_b32 s43, s43, exec_lo
                                        ; implicit-def: $vgpr3
	s_wait_xcnt 0x0
	s_and_saveexec_b32 s74, vcc_lo
	s_cbranch_execz .LBB6_283
; %bb.285:                              ;   in Loop: Header=BB6_284 Depth=4
	s_cmp_lt_i32 s73, 0x270f
	s_mov_b32 s75, -1
	s_cselect_b32 s77, -1, 0
	s_cmp_gt_i32 s73, 0x270e
	s_cbranch_scc0 .LBB6_287
; %bb.286:                              ;   in Loop: Header=BB6_284 Depth=4
	s_trap 2
	ds_load_b64 v[4:5], v0
	s_and_not1_b32 s73, s77, exec_lo
	s_mov_b32 s76, 0
	s_wait_storecnt 0x0
	s_wait_loadcnt_dscnt 0x0
	flat_load_b32 v3, v[4:5] scope:SCOPE_SYS
	s_wait_loadcnt_dscnt 0x0
	global_inv scope:SCOPE_SYS
	v_cmp_eq_u32_e64 s13, 0, v3
	s_and_b32 s13, s13, exec_lo
	s_delay_alu instid0(SALU_CYCLE_1)
	s_or_b32 s77, s73, s13
	s_mov_b32 s73, 0
	s_and_saveexec_b32 s78, s77
	s_cbranch_execz .LBB6_282
	s_branch .LBB6_281
.LBB6_287:                              ;   in Loop: Header=BB6_284 Depth=4
	s_add_co_i32 s73, s73, 1
	s_mov_b32 s76, -1
                                        ; implicit-def: $vgpr3
	s_and_saveexec_b32 s78, s77
	s_cbranch_execz .LBB6_282
	s_branch .LBB6_281
.LBB6_288:                              ;   in Loop: Header=BB6_276 Depth=3
	s_or_b32 exec_lo, exec_lo, s21
	s_xor_b32 s13, s24, -1
	s_delay_alu instid0(SALU_CYCLE_1) | instskip(NEXT) | instid1(SALU_CYCLE_1)
	s_and_saveexec_b32 s21, s13
	s_xor_b32 s13, exec_lo, s21
	s_cbranch_execz .LBB6_290
; %bb.289:                              ;   in Loop: Header=BB6_276 Depth=3
	v_or_b32_e32 v30, 64, v30
	s_wait_storecnt 0x0
	s_wait_loadcnt_dscnt 0x0
	ds_store_b32 v0, v3
	s_trap 2
.LBB6_290:                              ;   in Loop: Header=BB6_276 Depth=3
	s_or_b32 exec_lo, exec_lo, s13
.LBB6_291:                              ;   in Loop: Header=BB6_276 Depth=3
	s_delay_alu instid0(SALU_CYCLE_1) | instskip(SKIP_3) | instid1(VALU_DEP_1)
	s_or_b32 exec_lo, exec_lo, s20
	v_and_b32_e32 v3, 0x108, v30
	s_mov_b32 s13, exec_lo
	;;#ASMSTART
	s_wakeup
	;;#ASMEND
                                        ; implicit-def: $vgpr18_vgpr19
	v_cmpx_ne_u32_e32 0x108, v3
	s_xor_b32 s13, exec_lo, s13
; %bb.292:                              ;   in Loop: Header=BB6_276 Depth=3
	v_dual_mov_b32 v19, v2 :: v_dual_bitop2_b32 v18, 7, v112 bitop3:0x40
                                        ; implicit-def: $vgpr112_vgpr113
; %bb.293:                              ;   in Loop: Header=BB6_276 Depth=3
	s_and_not1_saveexec_b32 s13, s13
	s_cbranch_execz .LBB6_295
; %bb.294:                              ;   in Loop: Header=BB6_276 Depth=3
	v_dual_mov_b32 v19, v2 :: v_dual_bitop2_b32 v18, 7, v112 bitop3:0x40
	v_ashrrev_i32_e32 v9, 31, v8
	s_delay_alu instid0(VALU_DEP_2) | instskip(NEXT) | instid1(VALU_DEP_2)
	v_mad_nc_u64_u32 v[4:5], v18, 24, v[6:7]
	v_lshlrev_b64_e32 v[22:23], 2, v[8:9]
	flat_store_b64 v[4:5], v[22:23] offset:8
.LBB6_295:                              ;   in Loop: Header=BB6_276 Depth=3
	s_wait_xcnt 0x0
	s_or_b32 exec_lo, exec_lo, s13
	v_and_b32_e32 v3, 0x100, v30
	s_mov_b32 s13, -1
	s_mov_b32 s20, exec_lo
                                        ; implicit-def: $vgpr112_vgpr113
	s_delay_alu instid0(VALU_DEP_1)
	v_cmpx_ne_u32_e32 0, v3
	s_cbranch_execz .LBB6_299
; %bb.296:                              ;   in Loop: Header=BB6_276 Depth=3
	v_mad_nc_u64_u32 v[118:119], v18, 24, v[6:7]
	s_mov_b32 s21, exec_lo
                                        ; implicit-def: $vgpr112_vgpr113
	s_delay_alu instid0(VALU_DEP_1)
	v_mad_u32 v119, v19, 24, v119
	flat_load_b32 v3, v[118:119]
	s_wait_loadcnt_dscnt 0x0
	v_cmp_ne_u32_e32 vcc_lo, 1, v3
	s_wait_xcnt 0x0
	v_cmpx_eq_u32_e32 1, v3
	s_cbranch_execz .LBB6_298
; %bb.297:                              ;   in Loop: Header=BB6_276 Depth=3
	flat_load_b32 v4, v[118:119] offset:4 scope:SCOPE_SYS
	s_wait_loadcnt_dscnt 0x0
	v_ashrrev_i32_e32 v5, 31, v4
	s_delay_alu instid0(VALU_DEP_1)
	v_lshrrev_b64 v[112:113], 2, v[4:5]
.LBB6_298:                              ;   in Loop: Header=BB6_276 Depth=3
	s_wait_xcnt 0x0
	s_or_b32 exec_lo, exec_lo, s21
	s_delay_alu instid0(SALU_CYCLE_1)
	s_or_not1_b32 s13, vcc_lo, exec_lo
.LBB6_299:                              ;   in Loop: Header=BB6_276 Depth=3
	s_or_b32 exec_lo, exec_lo, s20
	s_and_saveexec_b32 s20, s13
; %bb.300:                              ;   in Loop: Header=BB6_276 Depth=3
	v_mul_u64_e32 v[112:113], v[18:19], v[28:29]
; %bb.301:                              ;   in Loop: Header=BB6_276 Depth=3
	s_or_b32 exec_lo, exec_lo, s20
	v_cmp_eq_u32_e32 vcc_lo, 0, v16
	v_and_b32_e32 v9, 0x2000, v30
	s_delay_alu instid0(VALU_DEP_3) | instskip(SKIP_2) | instid1(VALU_DEP_1)
	v_lshl_add_u64 v[4:5], v[112:113], 2, v[32:33]
	s_mov_b32 s13, exec_lo
	v_cndmask_b32_e32 v3, 0xc8, v90, vcc_lo
	v_add_nc_u32_e32 v3, v0, v3
	ds_store_b64 v3, v[4:5] offset:584
	v_cmpx_ne_u32_e32 0, v9
	s_cbranch_execz .LBB6_303
; %bb.302:                              ;   in Loop: Header=BB6_276 Depth=3
	ds_load_b64 v[4:5], v0 offset:872
	s_wait_dscnt 0x0
	v_add_nc_u64_e32 v[4:5], 1, v[4:5]
	ds_store_b64 v0, v[4:5] offset:872
.LBB6_303:                              ;   in Loop: Header=BB6_276 Depth=3
	s_or_b32 exec_lo, exec_lo, s13
	v_mov_b64_e32 v[112:113], v[14:15]
.LBB6_304:                              ;   in Loop: Header=BB6_276 Depth=3
	s_or_b32 exec_lo, exec_lo, s19
	s_and_saveexec_b32 s13, s2
	s_cbranch_execz .LBB6_323
; %bb.305:                              ;   in Loop: Header=BB6_276 Depth=3
	s_and_saveexec_b32 s19, s3
	s_delay_alu instid0(SALU_CYCLE_1)
	s_xor_b32 s19, exec_lo, s19
	s_cbranch_execz .LBB6_320
; %bb.306:                              ;   in Loop: Header=BB6_276 Depth=3
	s_and_saveexec_b32 s20, s6
	s_cbranch_execz .LBB6_319
; %bb.307:                              ;   in Loop: Header=BB6_276 Depth=3
	s_mov_b32 s24, exec_lo
	s_mov_b32 s21, exec_lo
	v_mbcnt_lo_u32_b32 v3, s24, 0
	global_wb scope:SCOPE_DEV
	s_wait_storecnt 0x0
	s_wait_loadcnt_dscnt 0x0
	global_inv scope:SCOPE_DEV
	v_cmpx_eq_u32_e32 0, v3
	s_cbranch_execz .LBB6_309
; %bb.308:                              ;   in Loop: Header=BB6_276 Depth=3
	s_bcnt1_i32_b32 s24, s24
	s_delay_alu instid0(SALU_CYCLE_1)
	v_dual_mov_b32 v5, v2 :: v_dual_mov_b32 v4, s24
	s_wait_loadcnt 0x0
	ds_add_u64 v0, v[4:5]
	s_trap 2
.LBB6_309:                              ;   in Loop: Header=BB6_276 Depth=3
	s_or_b32 exec_lo, exec_lo, s21
	s_trap 2
	ds_load_b64 v[4:5], v0
	s_wait_dscnt 0x0
	v_add_nc_u64_e32 v[36:37], v[36:37], v[48:49]
	s_mov_b32 s21, exec_lo
	s_delay_alu instid0(VALU_DEP_1)
	v_cmpx_lt_u64_e64 v[4:5], v[36:37]
	s_cbranch_execz .LBB6_318
; %bb.310:                              ;   in Loop: Header=BB6_276 Depth=3
	s_mov_b32 s24, 0
	s_mov_b32 s73, 0
                                        ; implicit-def: $sgpr43
                                        ; implicit-def: $sgpr72
	s_branch .LBB6_312
.LBB6_311:                              ;   in Loop: Header=BB6_312 Depth=4
	s_or_b32 exec_lo, exec_lo, s75
	s_delay_alu instid0(SALU_CYCLE_1) | instskip(NEXT) | instid1(SALU_CYCLE_1)
	s_and_b32 s74, exec_lo, s76
	s_or_b32 s24, s74, s24
	s_and_not1_b32 s43, s43, exec_lo
	s_and_b32 s74, s72, exec_lo
	s_delay_alu instid0(SALU_CYCLE_1)
	s_or_b32 s43, s43, s74
	s_and_not1_b32 exec_lo, exec_lo, s24
	s_cbranch_execz .LBB6_316
.LBB6_312:                              ;   Parent Loop BB6_47 Depth=1
                                        ;     Parent Loop BB6_273 Depth=2
                                        ;       Parent Loop BB6_276 Depth=3
                                        ; =>      This Inner Loop Header: Depth=4
	s_add_co_i32 s73, s73, 1
	s_delay_alu instid0(SALU_CYCLE_1) | instskip(SKIP_1) | instid1(SALU_CYCLE_1)
	s_cmp_lg_u32 s73, 0x2710
	s_cselect_b32 s74, -1, 0
	s_and_b32 vcc_lo, exec_lo, s74
	s_cbranch_vccz .LBB6_314
; %bb.313:                              ;   in Loop: Header=BB6_312 Depth=4
	s_mov_b32 s76, -1
	s_or_b32 s72, s72, exec_lo
	s_and_saveexec_b32 s75, s74
	s_cbranch_execz .LBB6_311
	s_branch .LBB6_315
.LBB6_314:                              ;   in Loop: Header=BB6_312 Depth=4
	s_trap 2
	ds_load_b64 v[4:5], v0
	s_and_not1_b32 s74, s74, exec_lo
	s_mov_b32 s73, 0
	s_wait_loadcnt_dscnt 0x0
	flat_load_b32 v3, v[4:5] scope:SCOPE_SYS
	s_wait_loadcnt_dscnt 0x0
	global_inv scope:SCOPE_SYS
	v_cmp_eq_u32_e32 vcc_lo, 0, v3
	s_and_b32 s75, vcc_lo, exec_lo
	s_delay_alu instid0(SALU_CYCLE_1)
	s_or_b32 s74, s74, s75
	s_mov_b32 s76, -1
	s_or_b32 s72, s72, exec_lo
	s_and_saveexec_b32 s75, s74
	s_cbranch_execz .LBB6_311
.LBB6_315:                              ;   in Loop: Header=BB6_312 Depth=4
	s_sleep 1
	s_trap 2
	ds_load_b64 v[4:5], v0
	s_wait_dscnt 0x0
	s_and_not1_b32 s72, s72, exec_lo
	v_cmp_ge_u64_e32 vcc_lo, v[4:5], v[36:37]
	s_or_not1_b32 s76, vcc_lo, exec_lo
	s_branch .LBB6_311
.LBB6_316:                              ;   in Loop: Header=BB6_276 Depth=3
	s_or_b32 exec_lo, exec_lo, s24
	s_and_saveexec_b32 s24, s43
	s_delay_alu instid0(SALU_CYCLE_1)
	s_xor_b32 s24, exec_lo, s24
	s_cbranch_execz .LBB6_318
; %bb.317:                              ;   in Loop: Header=BB6_276 Depth=3
	ds_store_b32 v0, v89
	s_trap 2
.LBB6_318:                              ;   in Loop: Header=BB6_276 Depth=3
	s_or_b32 exec_lo, exec_lo, s21
	;;#ASMSTART
	s_wakeup
	;;#ASMEND
.LBB6_319:                              ;   in Loop: Header=BB6_276 Depth=3
	s_or_b32 exec_lo, exec_lo, s20
.LBB6_320:                              ;   in Loop: Header=BB6_276 Depth=3
	s_and_not1_saveexec_b32 s19, s19
	s_cbranch_execz .LBB6_322
; %bb.321:                              ;   in Loop: Header=BB6_276 Depth=3
	global_wb scope:SCOPE_DEV
	s_wait_storecnt 0x0
	s_wait_loadcnt_dscnt 0x0
	global_inv scope:SCOPE_DEV
	s_barrier_signal -1
	s_barrier_wait -1
.LBB6_322:                              ;   in Loop: Header=BB6_276 Depth=3
	s_or_b32 exec_lo, exec_lo, s19
.LBB6_323:                              ;   in Loop: Header=BB6_276 Depth=3
	s_delay_alu instid0(SALU_CYCLE_1) | instskip(SKIP_4) | instid1(VALU_DEP_1)
	s_or_b32 exec_lo, exec_lo, s13
	s_trap 2
	ds_load_b32 v3, v0
	v_and_b32_e32 v4, 0x4000, v30
	s_xor_b32 s13, s1, -1
	v_cmp_ne_u32_e32 vcc_lo, 0, v4
	s_and_b32 s19, s13, vcc_lo
	s_delay_alu instid0(SALU_CYCLE_1)
	s_and_saveexec_b32 s13, s19
	s_cbranch_execz .LBB6_342
; %bb.324:                              ;   in Loop: Header=BB6_276 Depth=3
	s_and_saveexec_b32 s19, s3
	s_delay_alu instid0(SALU_CYCLE_1)
	s_xor_b32 s19, exec_lo, s19
	s_cbranch_execz .LBB6_339
; %bb.325:                              ;   in Loop: Header=BB6_276 Depth=3
	s_and_saveexec_b32 s20, s6
	s_cbranch_execz .LBB6_338
; %bb.326:                              ;   in Loop: Header=BB6_276 Depth=3
	s_mov_b32 s24, exec_lo
	s_mov_b32 s21, exec_lo
	v_mbcnt_lo_u32_b32 v4, s24, 0
	global_wb scope:SCOPE_DEV
	s_wait_storecnt 0x0
	s_wait_loadcnt_dscnt 0x0
	global_inv scope:SCOPE_DEV
	v_cmpx_eq_u32_e32 0, v4
	s_cbranch_execz .LBB6_328
; %bb.327:                              ;   in Loop: Header=BB6_276 Depth=3
	s_bcnt1_i32_b32 s24, s24
	s_delay_alu instid0(SALU_CYCLE_1)
	v_dual_mov_b32 v5, v2 :: v_dual_mov_b32 v4, s24
	s_wait_loadcnt 0x0
	ds_add_u64 v0, v[4:5]
	s_trap 2
.LBB6_328:                              ;   in Loop: Header=BB6_276 Depth=3
	s_or_b32 exec_lo, exec_lo, s21
	s_trap 2
	ds_load_b64 v[4:5], v0
	s_wait_dscnt 0x0
	v_add_nc_u64_e32 v[36:37], v[36:37], v[48:49]
	s_mov_b32 s21, exec_lo
	s_delay_alu instid0(VALU_DEP_1)
	v_cmpx_lt_u64_e64 v[4:5], v[36:37]
	s_cbranch_execz .LBB6_337
; %bb.329:                              ;   in Loop: Header=BB6_276 Depth=3
	s_mov_b32 s24, 0
	s_mov_b32 s73, 0
                                        ; implicit-def: $sgpr43
                                        ; implicit-def: $sgpr72
	s_branch .LBB6_331
.LBB6_330:                              ;   in Loop: Header=BB6_331 Depth=4
	s_or_b32 exec_lo, exec_lo, s75
	s_delay_alu instid0(SALU_CYCLE_1) | instskip(NEXT) | instid1(SALU_CYCLE_1)
	s_and_b32 s74, exec_lo, s76
	s_or_b32 s24, s74, s24
	s_and_not1_b32 s43, s43, exec_lo
	s_and_b32 s74, s72, exec_lo
	s_delay_alu instid0(SALU_CYCLE_1)
	s_or_b32 s43, s43, s74
	s_and_not1_b32 exec_lo, exec_lo, s24
	s_cbranch_execz .LBB6_335
.LBB6_331:                              ;   Parent Loop BB6_47 Depth=1
                                        ;     Parent Loop BB6_273 Depth=2
                                        ;       Parent Loop BB6_276 Depth=3
                                        ; =>      This Inner Loop Header: Depth=4
	s_add_co_i32 s73, s73, 1
	s_delay_alu instid0(SALU_CYCLE_1) | instskip(SKIP_1) | instid1(SALU_CYCLE_1)
	s_cmp_lg_u32 s73, 0x2710
	s_cselect_b32 s74, -1, 0
	s_and_b32 vcc_lo, exec_lo, s74
	s_cbranch_vccz .LBB6_333
; %bb.332:                              ;   in Loop: Header=BB6_331 Depth=4
	s_mov_b32 s76, -1
	s_or_b32 s72, s72, exec_lo
	s_and_saveexec_b32 s75, s74
	s_cbranch_execz .LBB6_330
	s_branch .LBB6_334
.LBB6_333:                              ;   in Loop: Header=BB6_331 Depth=4
	s_trap 2
	ds_load_b64 v[4:5], v0
	s_and_not1_b32 s74, s74, exec_lo
	s_mov_b32 s73, 0
	s_wait_loadcnt_dscnt 0x0
	flat_load_b32 v4, v[4:5] scope:SCOPE_SYS
	s_wait_loadcnt_dscnt 0x0
	global_inv scope:SCOPE_SYS
	v_cmp_eq_u32_e32 vcc_lo, 0, v4
	s_and_b32 s75, vcc_lo, exec_lo
	s_delay_alu instid0(SALU_CYCLE_1)
	s_or_b32 s74, s74, s75
	s_mov_b32 s76, -1
	s_or_b32 s72, s72, exec_lo
	s_and_saveexec_b32 s75, s74
	s_cbranch_execz .LBB6_330
.LBB6_334:                              ;   in Loop: Header=BB6_331 Depth=4
	s_sleep 1
	s_trap 2
	ds_load_b64 v[4:5], v0
	s_wait_dscnt 0x0
	s_and_not1_b32 s72, s72, exec_lo
	v_cmp_ge_u64_e32 vcc_lo, v[4:5], v[36:37]
	s_or_not1_b32 s76, vcc_lo, exec_lo
	s_branch .LBB6_330
.LBB6_335:                              ;   in Loop: Header=BB6_276 Depth=3
	s_or_b32 exec_lo, exec_lo, s24
	s_and_saveexec_b32 s24, s43
	s_delay_alu instid0(SALU_CYCLE_1)
	s_xor_b32 s24, exec_lo, s24
	s_cbranch_execz .LBB6_337
; %bb.336:                              ;   in Loop: Header=BB6_276 Depth=3
	ds_store_b32 v0, v89
	s_trap 2
.LBB6_337:                              ;   in Loop: Header=BB6_276 Depth=3
	s_or_b32 exec_lo, exec_lo, s21
	;;#ASMSTART
	s_wakeup
	;;#ASMEND
.LBB6_338:                              ;   in Loop: Header=BB6_276 Depth=3
	s_or_b32 exec_lo, exec_lo, s20
.LBB6_339:                              ;   in Loop: Header=BB6_276 Depth=3
	s_and_not1_saveexec_b32 s19, s19
	s_cbranch_execz .LBB6_341
; %bb.340:                              ;   in Loop: Header=BB6_276 Depth=3
	global_wb scope:SCOPE_DEV
	s_wait_storecnt 0x0
	s_wait_loadcnt_dscnt 0x0
	global_inv scope:SCOPE_DEV
	s_barrier_signal -1
	s_barrier_wait -1
.LBB6_341:                              ;   in Loop: Header=BB6_276 Depth=3
	s_or_b32 exec_lo, exec_lo, s19
.LBB6_342:                              ;   in Loop: Header=BB6_276 Depth=3
	s_delay_alu instid0(SALU_CYCLE_1)
	s_or_b32 exec_lo, exec_lo, s13
	s_trap 2
	ds_load_b64 v[14:15], v0
	s_wait_dscnt 0x0
	v_cmp_eq_u64_e32 vcc_lo, 0, v[14:15]
	s_cbranch_vccnz .LBB6_350
; %bb.343:                              ;   in Loop: Header=BB6_276 Depth=3
	s_trap 2
	ds_load_b64 v[16:17], v0
	s_wait_dscnt 0x0
	v_cmp_eq_u64_e32 vcc_lo, 0, v[16:17]
	s_cbranch_vccnz .LBB6_350
; %bb.344:                              ;   in Loop: Header=BB6_276 Depth=3
	s_mov_b32 s13, -1
	s_and_saveexec_b32 s19, s11
	s_cbranch_execz .LBB6_346
; %bb.345:                              ;   in Loop: Header=BB6_276 Depth=3
	ds_load_b32 v4, v0 offset:720
	s_wait_dscnt 0x0
	v_and_b32_e32 v4, 15, v4
	s_delay_alu instid0(VALU_DEP_1)
	v_cmp_eq_u32_e32 vcc_lo, 0, v4
	s_or_not1_b32 s13, vcc_lo, exec_lo
.LBB6_346:                              ;   in Loop: Header=BB6_276 Depth=3
	s_or_b32 exec_lo, exec_lo, s19
	s_and_saveexec_b32 s19, s10
	s_cbranch_execz .LBB6_348
; %bb.347:                              ;   in Loop: Header=BB6_276 Depth=3
	ds_load_b32 v4, v0 offset:784
	s_wait_dscnt 0x0
	v_and_b32_e32 v4, 15, v4
	s_delay_alu instid0(VALU_DEP_1) | instskip(SKIP_3) | instid1(SALU_CYCLE_1)
	v_cmp_eq_u32_e32 vcc_lo, 0, v4
	s_and_b32 s20, s13, vcc_lo
	s_and_not1_b32 s13, s13, exec_lo
	s_and_b32 s20, s20, exec_lo
	s_or_b32 s13, s13, s20
.LBB6_348:                              ;   in Loop: Header=BB6_276 Depth=3
	s_or_b32 exec_lo, exec_lo, s19
	v_cmp_eq_u32_e32 vcc_lo, 0, v3
	s_xor_b32 s13, s13, -1
	s_mov_b32 s20, -1
	v_cndmask_b32_e64 v4, 0, 1, s13
	v_dual_mov_b32 v3, 0 :: v_dual_cndmask_b32 v9, 0, v8, vcc_lo
	s_delay_alu instid0(VALU_DEP_2) | instskip(NEXT) | instid1(VALU_DEP_2)
	v_cmp_ne_u32_e32 vcc_lo, 0, v4
	v_lshlrev_b32_e32 v11, 2, v9
	s_cbranch_vccz .LBB6_355
; %bb.349:                              ;   in Loop: Header=BB6_276 Depth=3
	v_mov_b32_e32 v44, v0
	s_and_saveexec_b32 s13, s20
	s_cbranch_execnz .LBB6_366
	s_branch .LBB6_374
.LBB6_350:                              ;   in Loop: Header=BB6_276 Depth=3
	s_mov_b32 s13, 0
	s_and_saveexec_b32 s19, s2
	s_cbranch_execnz .LBB6_375
.LBB6_351:                              ;   in Loop: Header=BB6_276 Depth=3
	s_or_b32 exec_lo, exec_lo, s19
                                        ; implicit-def: $vgpr3
	s_and_saveexec_b32 s19, s12
	s_delay_alu instid0(SALU_CYCLE_1)
	s_xor_b32 s19, exec_lo, s19
	s_cbranch_execz .LBB6_393
.LBB6_352:                              ;   in Loop: Header=BB6_276 Depth=3
	v_and_b32_e32 v3, 16, v30
	s_delay_alu instid0(VALU_DEP_1) | instskip(SKIP_2) | instid1(SALU_CYCLE_1)
	v_cmp_ne_u32_e32 vcc_lo, 0, v3
	v_and_b32_e32 v3, 16, v30
	s_and_b32 s20, vcc_lo, s13
	s_and_saveexec_b32 s13, s20
	s_cbranch_execz .LBB6_354
; %bb.353:                              ;   in Loop: Header=BB6_276 Depth=3
	v_mov_b32_e32 v3, 1
	global_wb scope:SCOPE_SYS
	s_wait_storecnt 0x0
	s_wait_loadcnt_dscnt 0x0
	global_inv scope:SCOPE_SYS
.LBB6_354:                              ;   in Loop: Header=BB6_276 Depth=3
	s_or_b32 exec_lo, exec_lo, s13
	s_and_not1_saveexec_b32 s13, s19
	s_cbranch_execz .LBB6_412
	s_branch .LBB6_394
.LBB6_355:                              ;   in Loop: Header=BB6_276 Depth=3
	s_delay_alu instid0(VALU_DEP_1) | instskip(SKIP_1) | instid1(VALU_DEP_1)
	v_ashrrev_i32_e32 v3, 31, v11
	s_mov_b32 s13, exec_lo
	v_lshrrev_b32_e32 v3, 21, v3
	s_delay_alu instid0(VALU_DEP_1) | instskip(NEXT) | instid1(VALU_DEP_1)
	v_add_nc_u32_e32 v3, v11, v3
	v_ashrrev_i32_e32 v44, 11, v3
	s_delay_alu instid0(VALU_DEP_1) | instskip(NEXT) | instid1(VALU_DEP_1)
	v_sub_nc_u32_e32 v43, v44, v88
	v_cmpx_lt_i32_e32 0, v43
	s_cbranch_execz .LBB6_359
; %bb.356:                              ;   in Loop: Header=BB6_276 Depth=3
	s_trap 2
	ds_load_b64 v[4:5], v0
	v_add_nc_u64_e32 v[18:19], v[14:15], v[70:71]
	v_add_nc_u64_e32 v[40:41], v[16:17], v[70:71]
	s_mov_b32 s19, 0
	s_wait_dscnt 0x0
	v_add_nc_u64_e32 v[118:119], v[4:5], v[70:71]
.LBB6_357:                              ;   Parent Loop BB6_47 Depth=1
                                        ;     Parent Loop BB6_273 Depth=2
                                        ;       Parent Loop BB6_276 Depth=3
                                        ; =>      This Inner Loop Header: Depth=4
	global_load_b128 v[22:25], v[118:119], off th:TH_LOAD_NT
	global_load_b128 v[50:53], v[18:19], off th:TH_LOAD_NT
	global_load_b128 v[56:59], v[118:119], off offset:512 th:TH_LOAD_NT
	global_load_b128 v[60:63], v[18:19], off offset:512 th:TH_LOAD_NT
	;; [unrolled: 1-line block ×6, first 2 shown]
	v_sub_nc_u32_e32 v43, v43, v48
	s_wait_xcnt 0x0
	v_add_nc_u64_e32 v[18:19], v[18:19], v[80:81]
	v_add_nc_u64_e32 v[118:119], v[118:119], v[80:81]
	s_wait_loadcnt 0x6
	v_dual_mov_b32 v3, v23 :: v_dual_add_nc_u32 v24, v24, v52
	s_wait_loadcnt 0x4
	v_dual_add_nc_u32 v22, v22, v50 :: v_dual_add_nc_u32 v56, v56, v60
	v_add_nc_u32_e32 v58, v58, v62
	s_delay_alu instid0(VALU_DEP_3) | instskip(SKIP_2) | instid1(VALU_DEP_2)
	v_add_nc_u64_e32 v[4:5], v[2:3], v[50:51]
	v_mov_b32_e32 v3, v25
	v_cmp_gt_i32_e32 vcc_lo, 1, v43
	v_add_nc_u64_e32 v[50:51], v[2:3], v[52:53]
	s_wait_loadcnt 0x2
	v_dual_mov_b32 v3, v57 :: v_dual_add_nc_u32 v50, v72, v76
	s_or_b32 s19, vcc_lo, s19
	v_mov_b32_e32 v23, v5
	s_delay_alu instid0(VALU_DEP_2) | instskip(SKIP_2) | instid1(VALU_DEP_2)
	v_add_nc_u64_e32 v[52:53], v[2:3], v[60:61]
	v_dual_mov_b32 v3, v59 :: v_dual_add_nc_u32 v52, v74, v78
	v_mov_b32_e32 v25, v51
	v_add_nc_u64_e32 v[46:47], v[2:3], v[62:63]
	s_delay_alu instid0(VALU_DEP_4) | instskip(NEXT) | instid1(VALU_DEP_1)
	v_dual_mov_b32 v3, v73 :: v_dual_mov_b32 v57, v53
	v_add_nc_u64_e32 v[60:61], v[2:3], v[76:77]
	s_delay_alu instid0(VALU_DEP_3) | instskip(SKIP_2) | instid1(VALU_DEP_2)
	v_dual_mov_b32 v3, v75 :: v_dual_mov_b32 v59, v47
	s_wait_loadcnt 0x0
	v_add_nc_u32_e32 v60, v92, v104
	v_add_nc_u64_e32 v[62:63], v[2:3], v[78:79]
	s_delay_alu instid0(VALU_DEP_4) | instskip(SKIP_1) | instid1(VALU_DEP_2)
	v_dual_mov_b32 v3, v93 :: v_dual_mov_b32 v51, v61
	v_add_nc_u32_e32 v62, v94, v106
	v_add_nc_u64_e32 v[72:73], v[2:3], v[104:105]
	s_delay_alu instid0(VALU_DEP_4) | instskip(NEXT) | instid1(VALU_DEP_1)
	v_dual_mov_b32 v3, v95 :: v_dual_mov_b32 v53, v63
	v_add_nc_u64_e32 v[4:5], v[2:3], v[106:107]
	s_delay_alu instid0(VALU_DEP_1)
	v_dual_mov_b32 v61, v73 :: v_dual_mov_b32 v63, v5
	s_clause 0x3
	global_store_b128 v[40:41], v[22:25], off th:TH_STORE_NT
	global_store_b128 v[40:41], v[56:59], off offset:512 th:TH_STORE_NT
	global_store_b128 v[40:41], v[50:53], off offset:1024 th:TH_STORE_NT
	;; [unrolled: 1-line block ×3, first 2 shown]
	s_wait_xcnt 0x0
	v_add_nc_u64_e32 v[40:41], v[40:41], v[80:81]
	s_and_not1_b32 exec_lo, exec_lo, s19
	s_cbranch_execnz .LBB6_357
; %bb.358:                              ;   in Loop: Header=BB6_276 Depth=3
	s_or_b32 exec_lo, exec_lo, s19
.LBB6_359:                              ;   in Loop: Header=BB6_276 Depth=3
	s_delay_alu instid0(SALU_CYCLE_1) | instskip(SKIP_3) | instid1(VALU_DEP_1)
	s_or_b32 exec_lo, exec_lo, s13
	v_dual_lshlrev_b32 v45, 11, v44 :: v_dual_mov_b32 v3, 0
	s_mov_b32 s20, 0
	s_mov_b32 s19, exec_lo
                                        ; implicit-def: $vgpr44
	v_cmpx_ne_u32_e64 v11, v45
	s_cbranch_execz .LBB6_365
; %bb.360:                              ;   in Loop: Header=BB6_276 Depth=3
	v_dual_lshlrev_b32 v3, 5, v43 :: v_dual_sub_nc_u32 v5, v11, v45
	s_mov_b32 s20, exec_lo
	s_delay_alu instid0(VALU_DEP_1) | instskip(NEXT) | instid1(VALU_DEP_1)
	v_dual_sub_nc_u32 v3, v124, v3 :: v_dual_ashrrev_i32 v18, 31, v5
	v_dual_ashrrev_i32 v4, 31, v3 :: v_dual_lshrrev_b32 v18, 23, v18
	s_delay_alu instid0(VALU_DEP_1) | instskip(NEXT) | instid1(VALU_DEP_1)
	v_lshrrev_b32_e32 v4, 27, v4
	v_add_nc_u32_e32 v4, v3, v4
	s_delay_alu instid0(VALU_DEP_1) | instskip(NEXT) | instid1(VALU_DEP_1)
	v_and_b32_e32 v19, 0xffffffe0, v4
	v_dual_add_nc_u32 v18, v5, v18 :: v_dual_sub_nc_u32 v43, v3, v19
	s_delay_alu instid0(VALU_DEP_1) | instskip(SKIP_1) | instid1(VALU_DEP_2)
	v_and_b32_e32 v44, 0xfffffe00, v18
	v_dual_ashrrev_i32 v4, 5, v4 :: v_dual_ashrrev_i32 v18, 9, v18
	v_dual_lshlrev_b32 v3, 4, v43 :: v_dual_sub_nc_u32 v46, v5, v44
	s_delay_alu instid0(VALU_DEP_1) | instskip(NEXT) | instid1(VALU_DEP_2)
	v_lshl_add_u32 v3, v4, 9, v3
	v_cmp_lt_i32_e32 vcc_lo, 15, v46
	s_delay_alu instid0(VALU_DEP_4) | instskip(NEXT) | instid1(VALU_DEP_1)
	v_add_co_ci_u32_e64 v18, null, 0, v18, vcc_lo
	v_dual_sub_nc_u32 v56, v5, v3 :: v_dual_sub_nc_u32 v47, v18, v4
	s_delay_alu instid0(VALU_DEP_1)
	v_cmpx_lt_i32_e32 15, v56
	s_cbranch_execz .LBB6_364
; %bb.361:                              ;   in Loop: Header=BB6_276 Depth=3
	s_trap 2
	ds_load_b64 v[4:5], v0
	v_add_nc_u32_e32 v22, v3, v45
	s_mov_b32 s21, 0
	s_delay_alu instid0(VALU_DEP_1) | instskip(NEXT) | instid1(VALU_DEP_1)
	v_ashrrev_i32_e32 v23, 31, v22
	v_add_nc_u64_e32 v[18:19], v[22:23], v[14:15]
	v_add_nc_u64_e32 v[40:41], v[22:23], v[16:17]
	s_wait_dscnt 0x0
	v_add_nc_u64_e32 v[118:119], v[4:5], v[22:23]
.LBB6_362:                              ;   Parent Loop BB6_47 Depth=1
                                        ;     Parent Loop BB6_273 Depth=2
                                        ;       Parent Loop BB6_276 Depth=3
                                        ; =>      This Inner Loop Header: Depth=4
	global_load_b128 v[22:25], v[118:119], off th:TH_LOAD_NT
	global_load_b128 v[50:53], v[18:19], off th:TH_LOAD_NT
	v_mov_b32_e32 v4, v2
	s_wait_xcnt 0x0
	v_add_nc_u64_e32 v[18:19], v[18:19], v[64:65]
	v_add_nc_u64_e32 v[118:119], v[118:119], v[64:65]
	v_sub_nc_u32_e32 v47, v47, v48
	v_sub_nc_u32_e32 v56, v56, v64
	s_delay_alu instid0(VALU_DEP_1)
	v_cmp_gt_i32_e64 s13, 16, v56
	s_or_b32 s21, s13, s21
	s_wait_loadcnt 0x1
	v_dual_mov_b32 v3, v23 :: v_dual_mov_b32 v5, v25
	s_wait_loadcnt 0x0
	v_dual_add_nc_u32 v22, v22, v50 :: v_dual_add_nc_u32 v24, v24, v52
	s_delay_alu instid0(VALU_DEP_2) | instskip(NEXT) | instid1(VALU_DEP_3)
	v_add_nc_u64_e32 v[58:59], v[2:3], v[50:51]
	v_add_nc_u64_e32 v[4:5], v[4:5], v[52:53]
	s_delay_alu instid0(VALU_DEP_1)
	v_dual_mov_b32 v23, v59 :: v_dual_mov_b32 v25, v5
	global_store_b128 v[40:41], v[22:25], off th:TH_STORE_NT
	s_wait_xcnt 0x0
	v_add_nc_u64_e32 v[40:41], v[40:41], v[64:65]
	s_and_not1_b32 exec_lo, exec_lo, s21
	s_cbranch_execnz .LBB6_362
; %bb.363:                              ;   in Loop: Header=BB6_276 Depth=3
	s_or_b32 exec_lo, exec_lo, s21
.LBB6_364:                              ;   in Loop: Header=BB6_276 Depth=3
	s_delay_alu instid0(SALU_CYCLE_1) | instskip(NEXT) | instid1(VALU_DEP_2)
	s_or_b32 exec_lo, exec_lo, s20
	v_cmp_lt_i32_e64 s13, 0, v47
	s_delay_alu instid0(VALU_DEP_1) | instskip(NEXT) | instid1(VALU_DEP_1)
	v_dual_cndmask_b32 v5, 0, v48, s13 :: v_dual_bitop2_b32 v3, 12, v11 bitop3:0x40
	v_dual_cndmask_b32 v11, v46, v3 :: v_dual_sub_nc_u32 v4, v46, v3
	s_delay_alu instid0(VALU_DEP_1) | instskip(NEXT) | instid1(VALU_DEP_2)
	v_dual_cndmask_b32 v3, 0, v4 :: v_dual_sub_nc_u32 v4, v5, v47
	v_cmp_ne_u32_e32 vcc_lo, 0, v11
	s_delay_alu instid0(VALU_DEP_2) | instskip(NEXT) | instid1(VALU_DEP_3)
	v_add3_u32 v3, v44, v45, v3
	v_lshl_add_u32 v44, v4, 5, v43
	s_and_b32 s20, vcc_lo, exec_lo
.LBB6_365:                              ;   in Loop: Header=BB6_276 Depth=3
	s_or_b32 exec_lo, exec_lo, s19
	s_and_saveexec_b32 s13, s20
	s_cbranch_execz .LBB6_374
.LBB6_366:                              ;   in Loop: Header=BB6_276 Depth=3
	s_delay_alu instid0(VALU_DEP_1) | instskip(SKIP_1) | instid1(VALU_DEP_1)
	v_dual_ashrrev_i32 v4, 31, v44 :: v_dual_ashrrev_i32 v5, 31, v11
	s_mov_b32 s19, exec_lo
	v_dual_lshrrev_b32 v4, 27, v4 :: v_dual_lshrrev_b32 v5, 22, v5
	s_delay_alu instid0(VALU_DEP_1) | instskip(NEXT) | instid1(VALU_DEP_1)
	v_dual_add_nc_u32 v18, v44, v4 :: v_dual_add_nc_u32 v4, v11, v5
	v_dual_ashrrev_i32 v43, 5, v18 :: v_dual_ashrrev_i32 v46, 10, v4
	s_delay_alu instid0(VALU_DEP_1) | instskip(NEXT) | instid1(VALU_DEP_1)
	v_sub_nc_u32_e32 v45, v46, v43
	v_cmpx_lt_i32_e32 0, v45
	s_cbranch_execz .LBB6_370
; %bb.367:                              ;   in Loop: Header=BB6_276 Depth=3
	v_and_b32_e32 v4, 0x3fffffe0, v18
	s_trap 2
	v_add_nc_u64_e32 v[24:25], 0x380, v[16:17]
	s_mov_b32 s20, 0
	s_delay_alu instid0(VALU_DEP_2) | instskip(SKIP_2) | instid1(VALU_DEP_1)
	v_dual_lshlrev_b32 v19, 10, v43 :: v_dual_sub_nc_u32 v18, v44, v4
	ds_load_b64 v[4:5], v0
	v_lshlrev_b32_e32 v18, 2, v18
	v_add3_u32 v22, v18, v3, v19
	s_delay_alu instid0(VALU_DEP_1) | instskip(NEXT) | instid1(VALU_DEP_1)
	v_ashrrev_i32_e32 v23, 31, v22
	v_add_nc_u64_e32 v[18:19], v[22:23], v[14:15]
	s_wait_dscnt 0x0
	v_add_nc_u64_e32 v[118:119], v[4:5], v[22:23]
	v_add_nc_u64_e32 v[40:41], v[24:25], v[22:23]
.LBB6_368:                              ;   Parent Loop BB6_47 Depth=1
                                        ;     Parent Loop BB6_273 Depth=2
                                        ;       Parent Loop BB6_276 Depth=3
                                        ; =>      This Inner Loop Header: Depth=4
	s_clause 0x7
	flat_load_b32 v4, v[18:19] th:TH_LOAD_NT
	flat_load_b32 v5, v[18:19] offset:128 th:TH_LOAD_NT
	flat_load_b32 v22, v[18:19] offset:256 th:TH_LOAD_NT
	;; [unrolled: 1-line block ×7, first 2 shown]
	s_clause 0x7
	flat_load_b32 v52, v[118:119] th:TH_LOAD_NT
	flat_load_b32 v53, v[118:119] offset:128 th:TH_LOAD_NT
	flat_load_b32 v47, v[118:119] offset:256 th:TH_LOAD_NT
	flat_load_b32 v56, v[118:119] offset:384 th:TH_LOAD_NT
	flat_load_b32 v57, v[118:119] offset:512 th:TH_LOAD_NT
	flat_load_b32 v58, v[118:119] offset:640 th:TH_LOAD_NT
	flat_load_b32 v59, v[118:119] offset:768 th:TH_LOAD_NT
	flat_load_b32 v60, v[118:119] offset:896 th:TH_LOAD_NT
	v_sub_nc_u32_e32 v45, v45, v48
	s_wait_xcnt 0x8
	v_add_nc_u64_e32 v[18:19], v[18:19], v[66:67]
	s_wait_xcnt 0x0
	v_add_nc_u64_e32 v[118:119], v[118:119], v[66:67]
	s_wait_loadcnt_dscnt 0x606
	v_dual_add_nc_u32 v4, v52, v4 :: v_dual_add_nc_u32 v5, v53, v5
	s_wait_loadcnt_dscnt 0x404
	v_dual_add_nc_u32 v22, v47, v22 :: v_dual_add_nc_u32 v23, v56, v23
	s_wait_loadcnt_dscnt 0x303
	v_add_nc_u32_e32 v24, v57, v24
	v_cmp_gt_i32_e32 vcc_lo, 1, v45
	s_wait_loadcnt_dscnt 0x101
	v_dual_add_nc_u32 v25, v58, v25 :: v_dual_add_nc_u32 v50, v59, v50
	s_wait_loadcnt_dscnt 0x0
	v_add_nc_u32_e32 v51, v60, v51
	s_clause 0x7
	flat_store_b32 v[40:41], v4 offset:-896 th:TH_STORE_NT
	flat_store_b32 v[40:41], v5 offset:-768 th:TH_STORE_NT
	;; [unrolled: 1-line block ×7, first 2 shown]
	flat_store_b32 v[40:41], v51 th:TH_STORE_NT
	s_wait_xcnt 0x0
	v_add_nc_u64_e32 v[40:41], v[40:41], v[66:67]
	s_or_b32 s20, vcc_lo, s20
	s_delay_alu instid0(SALU_CYCLE_1)
	s_and_not1_b32 exec_lo, exec_lo, s20
	s_cbranch_execnz .LBB6_368
; %bb.369:                              ;   in Loop: Header=BB6_276 Depth=3
	s_or_b32 exec_lo, exec_lo, s20
.LBB6_370:                              ;   in Loop: Header=BB6_276 Depth=3
	s_delay_alu instid0(SALU_CYCLE_1) | instskip(SKIP_1) | instid1(VALU_DEP_1)
	s_or_b32 exec_lo, exec_lo, s19
	v_lshlrev_b32_e32 v18, 10, v46
	v_cmp_ne_u32_e32 vcc_lo, v11, v18
	s_and_b32 exec_lo, exec_lo, vcc_lo
	s_cbranch_execz .LBB6_374
; %bb.371:                              ;   in Loop: Header=BB6_276 Depth=3
	v_dual_lshlrev_b32 v4, 5, v43 :: v_dual_lshlrev_b32 v5, 5, v45
	s_delay_alu instid0(VALU_DEP_1) | instskip(NEXT) | instid1(VALU_DEP_1)
	v_sub_nc_u32_e32 v4, v44, v4
	v_sub_nc_u32_e32 v4, v4, v5
	s_delay_alu instid0(VALU_DEP_1) | instskip(NEXT) | instid1(VALU_DEP_1)
	v_ashrrev_i32_e32 v5, 31, v4
	v_lshrrev_b32_e32 v5, 27, v5
	s_delay_alu instid0(VALU_DEP_1) | instskip(NEXT) | instid1(VALU_DEP_1)
	v_add_nc_u32_e32 v5, v4, v5
	v_and_b32_e32 v19, 0x3fffffe0, v5
	s_delay_alu instid0(VALU_DEP_1) | instskip(NEXT) | instid1(VALU_DEP_1)
	v_dual_lshlrev_b32 v5, 2, v5 :: v_dual_sub_nc_u32 v4, v4, v19
	v_and_b32_e32 v5, 0xffffff80, v5
	s_delay_alu instid0(VALU_DEP_2) | instskip(NEXT) | instid1(VALU_DEP_1)
	v_lshlrev_b32_e32 v4, 2, v4
	v_add3_u32 v18, v5, v4, v18
	s_delay_alu instid0(VALU_DEP_1) | instskip(NEXT) | instid1(VALU_DEP_1)
	v_sub_nc_u32_e32 v11, v11, v18
	v_cmp_lt_i32_e32 vcc_lo, 3, v11
	s_and_b32 exec_lo, exec_lo, vcc_lo
	s_cbranch_execz .LBB6_374
; %bb.372:                              ;   in Loop: Header=BB6_276 Depth=3
	s_trap 2
	ds_load_b64 v[4:5], v0
	v_add_nc_u32_e32 v22, v18, v3
	s_mov_b32 s19, 0
	s_delay_alu instid0(VALU_DEP_1) | instskip(NEXT) | instid1(VALU_DEP_1)
	v_ashrrev_i32_e32 v23, 31, v22
	v_add_nc_u64_e32 v[14:15], v[22:23], v[14:15]
	v_add_nc_u64_e32 v[16:17], v[22:23], v[16:17]
	s_wait_dscnt 0x0
	v_add_nc_u64_e32 v[18:19], v[4:5], v[22:23]
.LBB6_373:                              ;   Parent Loop BB6_47 Depth=1
                                        ;     Parent Loop BB6_273 Depth=2
                                        ;       Parent Loop BB6_276 Depth=3
                                        ; =>      This Inner Loop Header: Depth=4
	flat_load_b32 v3, v[14:15] th:TH_LOAD_NT
	flat_load_b32 v4, v[18:19] th:TH_LOAD_NT
	v_sub_nc_u32_e32 v11, v11, v68
	s_wait_xcnt 0x1
	v_add_nc_u64_e32 v[14:15], v[14:15], v[68:69]
	s_wait_xcnt 0x0
	v_add_nc_u64_e32 v[18:19], v[18:19], v[68:69]
	s_wait_loadcnt_dscnt 0x0
	v_add_nc_u32_e32 v3, v4, v3
	v_cmp_gt_i32_e32 vcc_lo, 4, v11
	flat_store_b32 v[16:17], v3 th:TH_STORE_NT
	s_wait_xcnt 0x0
	v_add_nc_u64_e32 v[16:17], v[16:17], v[68:69]
	s_or_b32 s19, vcc_lo, s19
	s_delay_alu instid0(SALU_CYCLE_1)
	s_and_not1_b32 exec_lo, exec_lo, s19
	s_cbranch_execnz .LBB6_373
.LBB6_374:                              ;   in Loop: Header=BB6_276 Depth=3
	s_or_b32 exec_lo, exec_lo, s13
	v_cmp_lt_i32_e64 s13, 0, v9
	s_and_saveexec_b32 s19, s2
	s_cbranch_execz .LBB6_351
.LBB6_375:                              ;   in Loop: Header=BB6_276 Depth=3
	s_and_saveexec_b32 s20, s3
	s_delay_alu instid0(SALU_CYCLE_1)
	s_xor_b32 s20, exec_lo, s20
	s_cbranch_execz .LBB6_390
; %bb.376:                              ;   in Loop: Header=BB6_276 Depth=3
	s_and_saveexec_b32 s21, s6
	s_cbranch_execz .LBB6_389
; %bb.377:                              ;   in Loop: Header=BB6_276 Depth=3
	s_mov_b32 s43, exec_lo
	s_mov_b32 s24, exec_lo
	v_mbcnt_lo_u32_b32 v3, s43, 0
	global_wb scope:SCOPE_DEV
	s_wait_storecnt 0x0
	s_wait_loadcnt_dscnt 0x0
	global_inv scope:SCOPE_DEV
	v_cmpx_eq_u32_e32 0, v3
	s_cbranch_execz .LBB6_379
; %bb.378:                              ;   in Loop: Header=BB6_276 Depth=3
	s_bcnt1_i32_b32 s43, s43
	s_delay_alu instid0(SALU_CYCLE_1)
	v_dual_mov_b32 v5, v2 :: v_dual_mov_b32 v4, s43
	s_wait_loadcnt 0x0
	ds_add_u64 v0, v[4:5]
	s_trap 2
.LBB6_379:                              ;   in Loop: Header=BB6_276 Depth=3
	s_or_b32 exec_lo, exec_lo, s24
	s_trap 2
	ds_load_b64 v[4:5], v0
	s_wait_dscnt 0x0
	v_add_nc_u64_e32 v[36:37], v[36:37], v[48:49]
	s_mov_b32 s24, exec_lo
	s_delay_alu instid0(VALU_DEP_1)
	v_cmpx_lt_u64_e64 v[4:5], v[36:37]
	s_cbranch_execz .LBB6_388
; %bb.380:                              ;   in Loop: Header=BB6_276 Depth=3
	s_mov_b32 s43, 0
	s_mov_b32 s74, 0
                                        ; implicit-def: $sgpr72
                                        ; implicit-def: $sgpr73
	s_branch .LBB6_382
.LBB6_381:                              ;   in Loop: Header=BB6_382 Depth=4
	s_or_b32 exec_lo, exec_lo, s76
	s_delay_alu instid0(SALU_CYCLE_1) | instskip(NEXT) | instid1(SALU_CYCLE_1)
	s_and_b32 s75, exec_lo, s77
	s_or_b32 s43, s75, s43
	s_and_not1_b32 s72, s72, exec_lo
	s_and_b32 s75, s73, exec_lo
	s_delay_alu instid0(SALU_CYCLE_1)
	s_or_b32 s72, s72, s75
	s_and_not1_b32 exec_lo, exec_lo, s43
	s_cbranch_execz .LBB6_386
.LBB6_382:                              ;   Parent Loop BB6_47 Depth=1
                                        ;     Parent Loop BB6_273 Depth=2
                                        ;       Parent Loop BB6_276 Depth=3
                                        ; =>      This Inner Loop Header: Depth=4
	s_add_co_i32 s74, s74, 1
	s_delay_alu instid0(SALU_CYCLE_1) | instskip(SKIP_1) | instid1(SALU_CYCLE_1)
	s_cmp_lg_u32 s74, 0x2710
	s_cselect_b32 s75, -1, 0
	s_and_b32 vcc_lo, exec_lo, s75
	s_cbranch_vccz .LBB6_384
; %bb.383:                              ;   in Loop: Header=BB6_382 Depth=4
	s_mov_b32 s77, -1
	s_or_b32 s73, s73, exec_lo
	s_and_saveexec_b32 s76, s75
	s_cbranch_execz .LBB6_381
	s_branch .LBB6_385
.LBB6_384:                              ;   in Loop: Header=BB6_382 Depth=4
	s_trap 2
	ds_load_b64 v[4:5], v0
	s_and_not1_b32 s75, s75, exec_lo
	s_mov_b32 s74, 0
	s_wait_loadcnt_dscnt 0x0
	flat_load_b32 v3, v[4:5] scope:SCOPE_SYS
	s_wait_loadcnt_dscnt 0x0
	global_inv scope:SCOPE_SYS
	v_cmp_eq_u32_e32 vcc_lo, 0, v3
	s_and_b32 s76, vcc_lo, exec_lo
	s_delay_alu instid0(SALU_CYCLE_1)
	s_or_b32 s75, s75, s76
	s_mov_b32 s77, -1
	s_or_b32 s73, s73, exec_lo
	s_and_saveexec_b32 s76, s75
	s_cbranch_execz .LBB6_381
.LBB6_385:                              ;   in Loop: Header=BB6_382 Depth=4
	s_sleep 1
	s_trap 2
	ds_load_b64 v[4:5], v0
	s_wait_dscnt 0x0
	s_and_not1_b32 s73, s73, exec_lo
	v_cmp_ge_u64_e32 vcc_lo, v[4:5], v[36:37]
	s_or_not1_b32 s77, vcc_lo, exec_lo
	s_branch .LBB6_381
.LBB6_386:                              ;   in Loop: Header=BB6_276 Depth=3
	s_or_b32 exec_lo, exec_lo, s43
	s_and_saveexec_b32 s43, s72
	s_delay_alu instid0(SALU_CYCLE_1)
	s_xor_b32 s43, exec_lo, s43
	s_cbranch_execz .LBB6_388
; %bb.387:                              ;   in Loop: Header=BB6_276 Depth=3
	ds_store_b32 v0, v89
	s_trap 2
.LBB6_388:                              ;   in Loop: Header=BB6_276 Depth=3
	s_or_b32 exec_lo, exec_lo, s24
	;;#ASMSTART
	s_wakeup
	;;#ASMEND
.LBB6_389:                              ;   in Loop: Header=BB6_276 Depth=3
	s_or_b32 exec_lo, exec_lo, s21
.LBB6_390:                              ;   in Loop: Header=BB6_276 Depth=3
	s_and_not1_saveexec_b32 s20, s20
	s_cbranch_execz .LBB6_392
; %bb.391:                              ;   in Loop: Header=BB6_276 Depth=3
	global_wb scope:SCOPE_DEV
	s_wait_storecnt 0x0
	s_wait_loadcnt_dscnt 0x0
	global_inv scope:SCOPE_DEV
	s_barrier_signal -1
	s_barrier_wait -1
.LBB6_392:                              ;   in Loop: Header=BB6_276 Depth=3
	s_or_b32 exec_lo, exec_lo, s20
	s_delay_alu instid0(SALU_CYCLE_1) | instskip(SKIP_1) | instid1(SALU_CYCLE_1)
	s_or_b32 exec_lo, exec_lo, s19
                                        ; implicit-def: $vgpr3
	s_and_saveexec_b32 s19, s12
	s_xor_b32 s19, exec_lo, s19
	s_cbranch_execnz .LBB6_352
.LBB6_393:                              ;   in Loop: Header=BB6_276 Depth=3
	s_and_not1_saveexec_b32 s13, s19
	s_cbranch_execz .LBB6_412
.LBB6_394:                              ;   in Loop: Header=BB6_276 Depth=3
	s_and_saveexec_b32 s19, s3
	s_delay_alu instid0(SALU_CYCLE_1)
	s_xor_b32 s19, exec_lo, s19
	s_cbranch_execz .LBB6_409
; %bb.395:                              ;   in Loop: Header=BB6_276 Depth=3
	s_and_saveexec_b32 s20, s6
	s_cbranch_execz .LBB6_408
; %bb.396:                              ;   in Loop: Header=BB6_276 Depth=3
	s_mov_b32 s24, exec_lo
	s_mov_b32 s21, exec_lo
	v_mbcnt_lo_u32_b32 v3, s24, 0
	;;#ASMSTART
	s_waitcnt lgkmcnt(0) vmcnt(0)
	;;#ASMEND
	s_delay_alu instid0(VALU_DEP_1)
	v_cmpx_eq_u32_e32 0, v3
	s_cbranch_execz .LBB6_398
; %bb.397:                              ;   in Loop: Header=BB6_276 Depth=3
	s_bcnt1_i32_b32 s24, s24
	s_delay_alu instid0(SALU_CYCLE_1)
	v_dual_mov_b32 v5, v2 :: v_dual_mov_b32 v4, s24
	s_wait_storecnt 0x0
	s_wait_loadcnt_dscnt 0x0
	ds_add_u64 v0, v[4:5]
	s_trap 2
.LBB6_398:                              ;   in Loop: Header=BB6_276 Depth=3
	s_or_b32 exec_lo, exec_lo, s21
	s_trap 2
	ds_load_b64 v[4:5], v0
	s_wait_dscnt 0x0
	v_add_nc_u64_e32 v[36:37], v[36:37], v[48:49]
	s_mov_b32 s21, exec_lo
	s_delay_alu instid0(VALU_DEP_1)
	v_cmpx_lt_u64_e64 v[4:5], v[36:37]
	s_cbranch_execz .LBB6_407
; %bb.399:                              ;   in Loop: Header=BB6_276 Depth=3
	s_mov_b32 s24, 0
	s_mov_b32 s73, 0
                                        ; implicit-def: $sgpr43
                                        ; implicit-def: $sgpr72
	s_branch .LBB6_401
.LBB6_400:                              ;   in Loop: Header=BB6_401 Depth=4
	s_or_b32 exec_lo, exec_lo, s75
	s_delay_alu instid0(SALU_CYCLE_1) | instskip(NEXT) | instid1(SALU_CYCLE_1)
	s_and_b32 s74, exec_lo, s76
	s_or_b32 s24, s74, s24
	s_and_not1_b32 s43, s43, exec_lo
	s_and_b32 s74, s72, exec_lo
	s_delay_alu instid0(SALU_CYCLE_1)
	s_or_b32 s43, s43, s74
	s_and_not1_b32 exec_lo, exec_lo, s24
	s_cbranch_execz .LBB6_405
.LBB6_401:                              ;   Parent Loop BB6_47 Depth=1
                                        ;     Parent Loop BB6_273 Depth=2
                                        ;       Parent Loop BB6_276 Depth=3
                                        ; =>      This Inner Loop Header: Depth=4
	s_add_co_i32 s73, s73, 1
	s_delay_alu instid0(SALU_CYCLE_1) | instskip(SKIP_1) | instid1(SALU_CYCLE_1)
	s_cmp_lg_u32 s73, 0x2710
	s_cselect_b32 s74, -1, 0
	s_and_b32 vcc_lo, exec_lo, s74
	s_cbranch_vccz .LBB6_403
; %bb.402:                              ;   in Loop: Header=BB6_401 Depth=4
	s_mov_b32 s76, -1
	s_or_b32 s72, s72, exec_lo
	s_and_saveexec_b32 s75, s74
	s_cbranch_execz .LBB6_400
	s_branch .LBB6_404
.LBB6_403:                              ;   in Loop: Header=BB6_401 Depth=4
	s_trap 2
	ds_load_b64 v[4:5], v0
	s_and_not1_b32 s74, s74, exec_lo
	s_mov_b32 s73, 0
	s_wait_storecnt 0x0
	s_wait_loadcnt_dscnt 0x0
	flat_load_b32 v3, v[4:5] scope:SCOPE_SYS
	s_wait_loadcnt_dscnt 0x0
	global_inv scope:SCOPE_SYS
	v_cmp_eq_u32_e32 vcc_lo, 0, v3
	s_and_b32 s75, vcc_lo, exec_lo
	s_delay_alu instid0(SALU_CYCLE_1)
	s_or_b32 s74, s74, s75
	s_mov_b32 s76, -1
	s_or_b32 s72, s72, exec_lo
	s_and_saveexec_b32 s75, s74
	s_cbranch_execz .LBB6_400
.LBB6_404:                              ;   in Loop: Header=BB6_401 Depth=4
	s_sleep 1
	s_trap 2
	ds_load_b64 v[4:5], v0
	s_wait_dscnt 0x0
	s_and_not1_b32 s72, s72, exec_lo
	v_cmp_ge_u64_e32 vcc_lo, v[4:5], v[36:37]
	s_or_not1_b32 s76, vcc_lo, exec_lo
	s_branch .LBB6_400
.LBB6_405:                              ;   in Loop: Header=BB6_276 Depth=3
	s_or_b32 exec_lo, exec_lo, s24
	s_and_saveexec_b32 s24, s43
	s_delay_alu instid0(SALU_CYCLE_1)
	s_xor_b32 s24, exec_lo, s24
	s_cbranch_execz .LBB6_407
; %bb.406:                              ;   in Loop: Header=BB6_276 Depth=3
	ds_store_b32 v0, v89
	s_trap 2
.LBB6_407:                              ;   in Loop: Header=BB6_276 Depth=3
	s_or_b32 exec_lo, exec_lo, s21
	;;#ASMSTART
	s_wakeup
	;;#ASMEND
.LBB6_408:                              ;   in Loop: Header=BB6_276 Depth=3
	s_or_b32 exec_lo, exec_lo, s20
.LBB6_409:                              ;   in Loop: Header=BB6_276 Depth=3
	s_and_not1_saveexec_b32 s19, s19
	s_cbranch_execz .LBB6_411
; %bb.410:                              ;   in Loop: Header=BB6_276 Depth=3
	;;#ASMSTART
	s_waitcnt lgkmcnt(0) vmcnt(0)
	;;#ASMEND
	s_barrier_signal -1
	s_barrier_wait -1
.LBB6_411:                              ;   in Loop: Header=BB6_276 Depth=3
	s_or_b32 exec_lo, exec_lo, s19
	v_and_b32_e32 v3, 16, v30
.LBB6_412:                              ;   in Loop: Header=BB6_276 Depth=3
	s_or_b32 exec_lo, exec_lo, s13
	s_delay_alu instid0(VALU_DEP_1) | instskip(SKIP_1) | instid1(SALU_CYCLE_1)
	v_cmp_ne_u32_e32 vcc_lo, 0, v3
	s_xor_b32 s13, s4, -1
	s_and_b32 s19, vcc_lo, s13
	s_delay_alu instid0(SALU_CYCLE_1)
	s_and_saveexec_b32 s13, s19
	s_cbranch_execz .LBB6_414
; %bb.413:                              ;   in Loop: Header=BB6_276 Depth=3
	global_wb scope:SCOPE_SYS
	s_wait_storecnt 0x0
	s_wait_loadcnt_dscnt 0x0
	flat_store_b32 v[34:35], v89 scope:SCOPE_SYS
.LBB6_414:                              ;   in Loop: Header=BB6_276 Depth=3
	s_wait_xcnt 0x0
	s_or_b32 exec_lo, exec_lo, s13
	v_and_b32_e32 v3, 48, v30
	s_mov_b32 s13, exec_lo
	s_delay_alu instid0(VALU_DEP_1)
	v_cmpx_ne_u32_e32 0, v3
	s_cbranch_execz .LBB6_275
; %bb.415:                              ;   in Loop: Header=BB6_276 Depth=3
	v_add_nc_u64_e32 v[112:113], 2, v[112:113]
	global_wb scope:SCOPE_SYS
	s_wait_storecnt 0x0
	s_wait_loadcnt_dscnt 0x0
	flat_store_b64 v[26:27], v[112:113] scope:SCOPE_SYS
	s_branch .LBB6_275
.LBB6_416:                              ;   in Loop: Header=BB6_273 Depth=2
	s_or_b32 exec_lo, exec_lo, s16
.LBB6_417:                              ;   in Loop: Header=BB6_273 Depth=2
	s_delay_alu instid0(SALU_CYCLE_1) | instskip(NEXT) | instid1(SALU_CYCLE_1)
	s_or_b32 exec_lo, exec_lo, s15
	s_mov_b32 s15, exec_lo
	v_cmpx_gt_i32_e32 2, v3
	s_cbranch_execz .LBB6_272
; %bb.418:                              ;   in Loop: Header=BB6_273 Depth=2
	v_cmp_eq_u32_e64 s17, 0, v3
	s_mov_b32 s16, 0
	s_branch .LBB6_420
.LBB6_419:                              ;   in Loop: Header=BB6_420 Depth=3
	s_wait_xcnt 0x0
	s_or_b32 exec_lo, exec_lo, s13
	v_add_nc_u32_e32 v10, v8, v10
	s_mov_b32 s17, 0
	s_and_not1_b32 exec_lo, exec_lo, s16
	s_cbranch_execz .LBB6_271
.LBB6_420:                              ;   Parent Loop BB6_47 Depth=1
                                        ;     Parent Loop BB6_273 Depth=2
                                        ; =>    This Loop Header: Depth=3
                                        ;         Child Loop BB6_426 Depth 4
                                        ;         Child Loop BB6_454 Depth 4
	;; [unrolled: 1-line block ×3, first 2 shown]
	s_delay_alu instid0(VALU_DEP_1) | instskip(SKIP_2) | instid1(VALU_DEP_2)
	v_sub_nc_u32_e32 v3, v42, v10
	v_and_b32_e32 v4, 12, v30
	s_mov_b32 s18, exec_lo
	v_min_i32_e32 v8, v8, v3
	s_delay_alu instid0(VALU_DEP_2)
	v_cmpx_ne_u32_e32 0, v4
	s_cbranch_execz .LBB6_446
; %bb.421:                              ;   in Loop: Header=BB6_420 Depth=3
	v_dual_mov_b32 v15, v2 :: v_dual_bitop2_b32 v14, 8, v30 bitop3:0x40
	v_add_nc_u64_e32 v[12:13], 2, v[112:113]
	s_mov_b32 s19, exec_lo
	s_wait_loadcnt_dscnt 0x1
	s_delay_alu instid0(VALU_DEP_2) | instskip(NEXT) | instid1(VALU_DEP_1)
	v_add_nc_u64_e32 v[4:5], v[38:39], v[14:15]
	v_cmpx_lt_u64_e64 v[4:5], v[12:13]
	s_cbranch_execz .LBB6_433
; %bb.422:                              ;   in Loop: Header=BB6_420 Depth=3
	v_and_b32_e32 v3, 64, v30
	s_mov_b32 s20, 0
	s_mov_b32 s72, 0
                                        ; implicit-def: $sgpr21
                                        ; implicit-def: $sgpr24
                                        ; implicit-def: $sgpr43
	s_delay_alu instid0(VALU_DEP_1)
	v_cmp_eq_u32_e32 vcc_lo, 0, v3
	s_branch .LBB6_426
.LBB6_423:                              ;   in Loop: Header=BB6_426 Depth=4
	s_wait_loadcnt_dscnt 0x0
	v_add_nc_u64_e32 v[4:5], v[38:39], v[14:15]
	s_or_b32 s75, s75, exec_lo
	s_delay_alu instid0(VALU_DEP_1)
	v_cmp_ge_u64_e64 s13, v[4:5], v[12:13]
	s_or_not1_b32 s74, s13, exec_lo
.LBB6_424:                              ;   in Loop: Header=BB6_426 Depth=4
	s_or_b32 exec_lo, exec_lo, s77
	s_delay_alu instid0(SALU_CYCLE_1)
	s_and_not1_b32 s13, s43, exec_lo
	s_and_b32 s43, s75, exec_lo
	s_and_not1_b32 s24, s24, exec_lo
	s_and_b32 s74, s74, exec_lo
	s_or_b32 s43, s13, s43
	s_or_b32 s24, s24, s74
.LBB6_425:                              ;   in Loop: Header=BB6_426 Depth=4
	s_or_b32 exec_lo, exec_lo, s73
	s_delay_alu instid0(SALU_CYCLE_1) | instskip(NEXT) | instid1(SALU_CYCLE_1)
	s_and_b32 s13, exec_lo, s24
	s_or_b32 s20, s13, s20
	s_and_not1_b32 s13, s21, exec_lo
	s_and_b32 s21, s43, exec_lo
	s_delay_alu instid0(SALU_CYCLE_1)
	s_or_b32 s21, s13, s21
	s_and_not1_b32 exec_lo, exec_lo, s20
	s_cbranch_execz .LBB6_430
.LBB6_426:                              ;   Parent Loop BB6_47 Depth=1
                                        ;     Parent Loop BB6_273 Depth=2
                                        ;       Parent Loop BB6_420 Depth=3
                                        ; =>      This Inner Loop Header: Depth=4
	s_sleep 1
	s_wait_loadcnt_dscnt 0x0
	flat_load_b64 v[38:39], v[26:27] scope:SCOPE_SYS
	s_or_b32 s43, s43, exec_lo
	s_or_b32 s24, s24, exec_lo
                                        ; implicit-def: $vgpr3
	s_wait_xcnt 0x0
	s_and_saveexec_b32 s73, vcc_lo
	s_cbranch_execz .LBB6_425
; %bb.427:                              ;   in Loop: Header=BB6_426 Depth=4
	s_cmp_lt_i32 s72, 0x270f
	s_mov_b32 s74, -1
	s_cselect_b32 s76, -1, 0
	s_cmp_gt_i32 s72, 0x270e
	s_cbranch_scc0 .LBB6_429
; %bb.428:                              ;   in Loop: Header=BB6_426 Depth=4
	s_trap 2
	ds_load_b64 v[4:5], v0
	s_and_not1_b32 s72, s76, exec_lo
	s_mov_b32 s75, 0
	s_wait_storecnt 0x0
	s_wait_loadcnt_dscnt 0x0
	flat_load_b32 v3, v[4:5] scope:SCOPE_SYS
	s_wait_loadcnt_dscnt 0x0
	global_inv scope:SCOPE_SYS
	v_cmp_eq_u32_e64 s13, 0, v3
	s_and_b32 s13, s13, exec_lo
	s_delay_alu instid0(SALU_CYCLE_1)
	s_or_b32 s76, s72, s13
	s_mov_b32 s72, 0
	s_and_saveexec_b32 s77, s76
	s_cbranch_execz .LBB6_424
	s_branch .LBB6_423
.LBB6_429:                              ;   in Loop: Header=BB6_426 Depth=4
	s_add_co_i32 s72, s72, 1
	s_mov_b32 s75, -1
                                        ; implicit-def: $vgpr3
	s_and_saveexec_b32 s77, s76
	s_cbranch_execz .LBB6_424
	s_branch .LBB6_423
.LBB6_430:                              ;   in Loop: Header=BB6_420 Depth=3
	s_or_b32 exec_lo, exec_lo, s20
	s_xor_b32 s13, s21, -1
	s_delay_alu instid0(SALU_CYCLE_1) | instskip(NEXT) | instid1(SALU_CYCLE_1)
	s_and_saveexec_b32 s20, s13
	s_xor_b32 s13, exec_lo, s20
	s_cbranch_execz .LBB6_432
; %bb.431:                              ;   in Loop: Header=BB6_420 Depth=3
	v_or_b32_e32 v30, 64, v30
	s_wait_storecnt 0x0
	s_wait_loadcnt_dscnt 0x0
	ds_store_b32 v0, v3
	s_trap 2
.LBB6_432:                              ;   in Loop: Header=BB6_420 Depth=3
	s_or_b32 exec_lo, exec_lo, s13
.LBB6_433:                              ;   in Loop: Header=BB6_420 Depth=3
	s_delay_alu instid0(SALU_CYCLE_1) | instskip(SKIP_3) | instid1(VALU_DEP_1)
	s_or_b32 exec_lo, exec_lo, s19
	v_and_b32_e32 v3, 0x108, v30
	s_mov_b32 s13, exec_lo
	;;#ASMSTART
	s_wakeup
	;;#ASMEND
                                        ; implicit-def: $vgpr16_vgpr17
	v_cmpx_ne_u32_e32 0x108, v3
	s_xor_b32 s13, exec_lo, s13
; %bb.434:                              ;   in Loop: Header=BB6_420 Depth=3
	v_dual_mov_b32 v17, v2 :: v_dual_bitop2_b32 v16, 7, v112 bitop3:0x40
                                        ; implicit-def: $vgpr112_vgpr113
; %bb.435:                              ;   in Loop: Header=BB6_420 Depth=3
	s_and_not1_saveexec_b32 s13, s13
	s_cbranch_execz .LBB6_437
; %bb.436:                              ;   in Loop: Header=BB6_420 Depth=3
	v_dual_mov_b32 v17, v2 :: v_dual_bitop2_b32 v16, 7, v112 bitop3:0x40
	v_ashrrev_i32_e32 v9, 31, v8
	s_delay_alu instid0(VALU_DEP_2) | instskip(NEXT) | instid1(VALU_DEP_2)
	v_mad_nc_u64_u32 v[4:5], v16, 24, v[6:7]
	v_lshlrev_b64_e32 v[18:19], 2, v[8:9]
	flat_store_b64 v[4:5], v[18:19] offset:8
.LBB6_437:                              ;   in Loop: Header=BB6_420 Depth=3
	s_wait_xcnt 0x0
	s_or_b32 exec_lo, exec_lo, s13
	v_and_b32_e32 v3, 0x100, v30
	s_mov_b32 s13, -1
	s_mov_b32 s19, exec_lo
                                        ; implicit-def: $vgpr18_vgpr19
	s_delay_alu instid0(VALU_DEP_1)
	v_cmpx_ne_u32_e32 0, v3
	s_cbranch_execz .LBB6_441
; %bb.438:                              ;   in Loop: Header=BB6_420 Depth=3
	v_mad_nc_u64_u32 v[112:113], v16, 24, v[6:7]
	s_mov_b32 s20, exec_lo
                                        ; implicit-def: $vgpr18_vgpr19
	s_delay_alu instid0(VALU_DEP_1)
	v_mad_u32 v113, v17, 24, v113
	flat_load_b32 v3, v[112:113]
	s_wait_loadcnt_dscnt 0x0
	v_cmp_ne_u32_e32 vcc_lo, 1, v3
	s_wait_xcnt 0x0
	v_cmpx_eq_u32_e32 1, v3
	s_cbranch_execz .LBB6_440
; %bb.439:                              ;   in Loop: Header=BB6_420 Depth=3
	flat_load_b32 v4, v[112:113] offset:4 scope:SCOPE_SYS
	s_wait_loadcnt_dscnt 0x0
	v_ashrrev_i32_e32 v5, 31, v4
	s_delay_alu instid0(VALU_DEP_1)
	v_lshrrev_b64 v[18:19], 2, v[4:5]
.LBB6_440:                              ;   in Loop: Header=BB6_420 Depth=3
	s_wait_xcnt 0x0
	s_or_b32 exec_lo, exec_lo, s20
	s_delay_alu instid0(SALU_CYCLE_1)
	s_or_not1_b32 s13, vcc_lo, exec_lo
.LBB6_441:                              ;   in Loop: Header=BB6_420 Depth=3
	s_or_b32 exec_lo, exec_lo, s19
	s_and_saveexec_b32 s19, s13
; %bb.442:                              ;   in Loop: Header=BB6_420 Depth=3
	v_mul_u64_e32 v[18:19], v[16:17], v[28:29]
; %bb.443:                              ;   in Loop: Header=BB6_420 Depth=3
	s_or_b32 exec_lo, exec_lo, s19
	v_cmp_eq_u32_e32 vcc_lo, 0, v14
	v_and_b32_e32 v9, 0x2000, v30
	s_delay_alu instid0(VALU_DEP_3) | instskip(SKIP_2) | instid1(VALU_DEP_1)
	v_lshl_add_u64 v[4:5], v[18:19], 2, v[32:33]
	s_mov_b32 s13, exec_lo
	v_cndmask_b32_e32 v3, 0xc8, v90, vcc_lo
	v_add_nc_u32_e32 v3, v0, v3
	ds_store_b64 v3, v[4:5] offset:584
	v_cmpx_ne_u32_e32 0, v9
	s_cbranch_execz .LBB6_445
; %bb.444:                              ;   in Loop: Header=BB6_420 Depth=3
	ds_load_b64 v[4:5], v0 offset:872
	s_wait_dscnt 0x0
	v_add_nc_u64_e32 v[4:5], 1, v[4:5]
	ds_store_b64 v0, v[4:5] offset:872
.LBB6_445:                              ;   in Loop: Header=BB6_420 Depth=3
	s_or_b32 exec_lo, exec_lo, s13
	v_mov_b64_e32 v[112:113], v[12:13]
.LBB6_446:                              ;   in Loop: Header=BB6_420 Depth=3
	s_or_b32 exec_lo, exec_lo, s18
	s_xor_b32 s13, s17, -1
	s_delay_alu instid0(SALU_CYCLE_1) | instskip(NEXT) | instid1(SALU_CYCLE_1)
	s_and_b32 s13, exec_lo, s13
	s_or_b32 s16, s13, s16
	s_and_saveexec_b32 s13, s2
	s_cbranch_execz .LBB6_465
; %bb.447:                              ;   in Loop: Header=BB6_420 Depth=3
	s_and_saveexec_b32 s17, s3
	s_delay_alu instid0(SALU_CYCLE_1)
	s_xor_b32 s17, exec_lo, s17
	s_cbranch_execz .LBB6_462
; %bb.448:                              ;   in Loop: Header=BB6_420 Depth=3
	s_and_saveexec_b32 s18, s6
	s_cbranch_execz .LBB6_461
; %bb.449:                              ;   in Loop: Header=BB6_420 Depth=3
	s_mov_b32 s20, exec_lo
	s_mov_b32 s19, exec_lo
	v_mbcnt_lo_u32_b32 v3, s20, 0
	global_wb scope:SCOPE_DEV
	s_wait_storecnt 0x0
	s_wait_loadcnt_dscnt 0x0
	global_inv scope:SCOPE_DEV
	v_cmpx_eq_u32_e32 0, v3
	s_cbranch_execz .LBB6_451
; %bb.450:                              ;   in Loop: Header=BB6_420 Depth=3
	s_bcnt1_i32_b32 s20, s20
	s_delay_alu instid0(SALU_CYCLE_1)
	v_dual_mov_b32 v5, v2 :: v_dual_mov_b32 v4, s20
	s_wait_loadcnt 0x0
	ds_add_u64 v0, v[4:5]
	s_trap 2
.LBB6_451:                              ;   in Loop: Header=BB6_420 Depth=3
	s_or_b32 exec_lo, exec_lo, s19
	s_trap 2
	ds_load_b64 v[4:5], v0
	s_wait_dscnt 0x0
	v_add_nc_u64_e32 v[36:37], v[36:37], v[48:49]
	s_mov_b32 s19, exec_lo
	s_delay_alu instid0(VALU_DEP_1)
	v_cmpx_lt_u64_e64 v[4:5], v[36:37]
	s_cbranch_execz .LBB6_460
; %bb.452:                              ;   in Loop: Header=BB6_420 Depth=3
	s_mov_b32 s20, 0
	s_mov_b32 s43, 0
                                        ; implicit-def: $sgpr21
                                        ; implicit-def: $sgpr24
	s_branch .LBB6_454
.LBB6_453:                              ;   in Loop: Header=BB6_454 Depth=4
	s_or_b32 exec_lo, exec_lo, s73
	s_delay_alu instid0(SALU_CYCLE_1) | instskip(NEXT) | instid1(SALU_CYCLE_1)
	s_and_b32 s72, exec_lo, s74
	s_or_b32 s20, s72, s20
	s_and_not1_b32 s21, s21, exec_lo
	s_and_b32 s72, s24, exec_lo
	s_delay_alu instid0(SALU_CYCLE_1)
	s_or_b32 s21, s21, s72
	s_and_not1_b32 exec_lo, exec_lo, s20
	s_cbranch_execz .LBB6_458
.LBB6_454:                              ;   Parent Loop BB6_47 Depth=1
                                        ;     Parent Loop BB6_273 Depth=2
                                        ;       Parent Loop BB6_420 Depth=3
                                        ; =>      This Inner Loop Header: Depth=4
	s_add_co_i32 s43, s43, 1
	s_delay_alu instid0(SALU_CYCLE_1) | instskip(SKIP_1) | instid1(SALU_CYCLE_1)
	s_cmp_lg_u32 s43, 0x2710
	s_cselect_b32 s72, -1, 0
	s_and_b32 vcc_lo, exec_lo, s72
	s_cbranch_vccz .LBB6_456
; %bb.455:                              ;   in Loop: Header=BB6_454 Depth=4
	s_mov_b32 s74, -1
	s_or_b32 s24, s24, exec_lo
	s_and_saveexec_b32 s73, s72
	s_cbranch_execz .LBB6_453
	s_branch .LBB6_457
.LBB6_456:                              ;   in Loop: Header=BB6_454 Depth=4
	s_trap 2
	ds_load_b64 v[4:5], v0
	s_and_not1_b32 s72, s72, exec_lo
	s_mov_b32 s43, 0
	s_wait_loadcnt_dscnt 0x0
	flat_load_b32 v3, v[4:5] scope:SCOPE_SYS
	s_wait_loadcnt_dscnt 0x0
	global_inv scope:SCOPE_SYS
	v_cmp_eq_u32_e32 vcc_lo, 0, v3
	s_and_b32 s73, vcc_lo, exec_lo
	s_delay_alu instid0(SALU_CYCLE_1)
	s_or_b32 s72, s72, s73
	s_mov_b32 s74, -1
	s_or_b32 s24, s24, exec_lo
	s_and_saveexec_b32 s73, s72
	s_cbranch_execz .LBB6_453
.LBB6_457:                              ;   in Loop: Header=BB6_454 Depth=4
	s_sleep 1
	s_trap 2
	ds_load_b64 v[4:5], v0
	s_wait_dscnt 0x0
	s_and_not1_b32 s24, s24, exec_lo
	v_cmp_ge_u64_e32 vcc_lo, v[4:5], v[36:37]
	s_or_not1_b32 s74, vcc_lo, exec_lo
	s_branch .LBB6_453
.LBB6_458:                              ;   in Loop: Header=BB6_420 Depth=3
	s_or_b32 exec_lo, exec_lo, s20
	s_and_saveexec_b32 s20, s21
	s_delay_alu instid0(SALU_CYCLE_1)
	s_xor_b32 s20, exec_lo, s20
	s_cbranch_execz .LBB6_460
; %bb.459:                              ;   in Loop: Header=BB6_420 Depth=3
	ds_store_b32 v0, v89
	s_trap 2
.LBB6_460:                              ;   in Loop: Header=BB6_420 Depth=3
	s_or_b32 exec_lo, exec_lo, s19
	;;#ASMSTART
	s_wakeup
	;;#ASMEND
.LBB6_461:                              ;   in Loop: Header=BB6_420 Depth=3
	s_or_b32 exec_lo, exec_lo, s18
.LBB6_462:                              ;   in Loop: Header=BB6_420 Depth=3
	s_and_not1_saveexec_b32 s17, s17
	s_cbranch_execz .LBB6_464
; %bb.463:                              ;   in Loop: Header=BB6_420 Depth=3
	global_wb scope:SCOPE_DEV
	s_wait_storecnt 0x0
	s_wait_loadcnt_dscnt 0x0
	global_inv scope:SCOPE_DEV
	s_barrier_signal -1
	s_barrier_wait -1
.LBB6_464:                              ;   in Loop: Header=BB6_420 Depth=3
	s_or_b32 exec_lo, exec_lo, s17
.LBB6_465:                              ;   in Loop: Header=BB6_420 Depth=3
	s_delay_alu instid0(SALU_CYCLE_1) | instskip(SKIP_1) | instid1(SALU_CYCLE_1)
	s_or_b32 exec_lo, exec_lo, s13
                                        ; implicit-def: $vgpr3
	s_and_saveexec_b32 s13, s59
	s_xor_b32 s13, exec_lo, s13
	s_cbranch_execz .LBB6_477
; %bb.466:                              ;   in Loop: Header=BB6_420 Depth=3
	s_and_saveexec_b32 s17, s3
	s_delay_alu instid0(SALU_CYCLE_1)
	s_xor_b32 s17, exec_lo, s17
	s_cbranch_execz .LBB6_482
; %bb.467:                              ;   in Loop: Header=BB6_420 Depth=3
	s_and_saveexec_b32 s18, s6
	s_cbranch_execz .LBB6_481
; %bb.468:                              ;   in Loop: Header=BB6_420 Depth=3
	s_mov_b32 s20, exec_lo
	s_mov_b32 s19, exec_lo
	v_mbcnt_lo_u32_b32 v3, s20, 0
	;;#ASMSTART
	s_waitcnt lgkmcnt(0) vmcnt(0)
	;;#ASMEND
	s_delay_alu instid0(VALU_DEP_1)
	v_cmpx_eq_u32_e32 0, v3
	s_cbranch_execz .LBB6_470
; %bb.469:                              ;   in Loop: Header=BB6_420 Depth=3
	s_bcnt1_i32_b32 s20, s20
	s_delay_alu instid0(SALU_CYCLE_1)
	v_dual_mov_b32 v5, v2 :: v_dual_mov_b32 v4, s20
	s_wait_storecnt 0x0
	s_wait_loadcnt_dscnt 0x0
	ds_add_u64 v0, v[4:5]
	s_trap 2
.LBB6_470:                              ;   in Loop: Header=BB6_420 Depth=3
	s_or_b32 exec_lo, exec_lo, s19
	s_trap 2
	ds_load_b64 v[4:5], v0
	s_wait_dscnt 0x0
	v_add_nc_u64_e32 v[36:37], v[36:37], v[48:49]
	s_mov_b32 s19, exec_lo
	s_delay_alu instid0(VALU_DEP_1)
	v_cmpx_lt_u64_e64 v[4:5], v[36:37]
	s_cbranch_execz .LBB6_480
; %bb.471:                              ;   in Loop: Header=BB6_420 Depth=3
	s_mov_b32 s20, 0
	s_mov_b32 s43, 0
                                        ; implicit-def: $sgpr21
                                        ; implicit-def: $sgpr24
	s_branch .LBB6_473
.LBB6_472:                              ;   in Loop: Header=BB6_473 Depth=4
	s_or_b32 exec_lo, exec_lo, s73
	s_delay_alu instid0(SALU_CYCLE_1) | instskip(NEXT) | instid1(SALU_CYCLE_1)
	s_and_b32 s72, exec_lo, s74
	s_or_b32 s20, s72, s20
	s_and_not1_b32 s21, s21, exec_lo
	s_and_b32 s72, s24, exec_lo
	s_delay_alu instid0(SALU_CYCLE_1)
	s_or_b32 s21, s21, s72
	s_and_not1_b32 exec_lo, exec_lo, s20
	s_cbranch_execz .LBB6_478
.LBB6_473:                              ;   Parent Loop BB6_47 Depth=1
                                        ;     Parent Loop BB6_273 Depth=2
                                        ;       Parent Loop BB6_420 Depth=3
                                        ; =>      This Inner Loop Header: Depth=4
	s_add_co_i32 s43, s43, 1
	s_delay_alu instid0(SALU_CYCLE_1) | instskip(SKIP_1) | instid1(SALU_CYCLE_1)
	s_cmp_lg_u32 s43, 0x2710
	s_cselect_b32 s72, -1, 0
	s_and_b32 vcc_lo, exec_lo, s72
	s_cbranch_vccz .LBB6_475
; %bb.474:                              ;   in Loop: Header=BB6_473 Depth=4
	s_mov_b32 s74, -1
	s_or_b32 s24, s24, exec_lo
	s_and_saveexec_b32 s73, s72
	s_cbranch_execz .LBB6_472
	s_branch .LBB6_476
.LBB6_475:                              ;   in Loop: Header=BB6_473 Depth=4
	s_trap 2
	ds_load_b64 v[4:5], v0
	s_and_not1_b32 s72, s72, exec_lo
	s_mov_b32 s43, 0
	s_wait_storecnt 0x0
	s_wait_loadcnt_dscnt 0x0
	flat_load_b32 v3, v[4:5] scope:SCOPE_SYS
	s_wait_loadcnt_dscnt 0x0
	global_inv scope:SCOPE_SYS
	v_cmp_eq_u32_e32 vcc_lo, 0, v3
	s_and_b32 s73, vcc_lo, exec_lo
	s_delay_alu instid0(SALU_CYCLE_1)
	s_or_b32 s72, s72, s73
	s_mov_b32 s74, -1
	s_or_b32 s24, s24, exec_lo
	s_and_saveexec_b32 s73, s72
	s_cbranch_execz .LBB6_472
.LBB6_476:                              ;   in Loop: Header=BB6_473 Depth=4
	s_sleep 1
	s_trap 2
	ds_load_b64 v[4:5], v0
	s_wait_dscnt 0x0
	s_and_not1_b32 s24, s24, exec_lo
	v_cmp_ge_u64_e32 vcc_lo, v[4:5], v[36:37]
	s_or_not1_b32 s74, vcc_lo, exec_lo
	s_branch .LBB6_472
.LBB6_477:                              ;   in Loop: Header=BB6_420 Depth=3
	s_and_not1_saveexec_b32 s17, s13
	s_cbranch_execnz .LBB6_485
	s_branch .LBB6_488
.LBB6_478:                              ;   in Loop: Header=BB6_420 Depth=3
	s_or_b32 exec_lo, exec_lo, s20
	s_and_saveexec_b32 s20, s21
	s_delay_alu instid0(SALU_CYCLE_1)
	s_xor_b32 s20, exec_lo, s20
	s_cbranch_execz .LBB6_480
; %bb.479:                              ;   in Loop: Header=BB6_420 Depth=3
	ds_store_b32 v0, v89
	s_trap 2
.LBB6_480:                              ;   in Loop: Header=BB6_420 Depth=3
	s_or_b32 exec_lo, exec_lo, s19
	;;#ASMSTART
	s_wakeup
	;;#ASMEND
.LBB6_481:                              ;   in Loop: Header=BB6_420 Depth=3
	s_or_b32 exec_lo, exec_lo, s18
.LBB6_482:                              ;   in Loop: Header=BB6_420 Depth=3
	s_and_not1_saveexec_b32 s17, s17
	s_cbranch_execz .LBB6_484
; %bb.483:                              ;   in Loop: Header=BB6_420 Depth=3
	;;#ASMSTART
	s_waitcnt lgkmcnt(0) vmcnt(0)
	;;#ASMEND
	s_barrier_signal -1
	s_barrier_wait -1
.LBB6_484:                              ;   in Loop: Header=BB6_420 Depth=3
	s_or_b32 exec_lo, exec_lo, s17
	v_and_b32_e32 v3, 16, v30
	s_and_not1_saveexec_b32 s17, s13
	s_cbranch_execz .LBB6_488
.LBB6_485:                              ;   in Loop: Header=BB6_420 Depth=3
	s_trap 2
	ds_load_b32 v3, v0
	v_cmp_lt_i32_e32 vcc_lo, 0, v8
	s_wait_dscnt 0x0
	v_readfirstlane_b32 s13, v3
	v_and_b32_e32 v3, 16, v30
	s_cmp_eq_u32 s13, 0
	s_delay_alu instid0(VALU_DEP_1) | instskip(SKIP_3) | instid1(SALU_CYCLE_1)
	v_cmp_ne_u32_e64 s13, 0, v3
	s_cselect_b32 s18, -1, 0
	v_and_b32_e32 v3, 16, v30
	s_and_b32 s18, vcc_lo, s18
	s_and_b32 s18, s13, s18
	s_delay_alu instid0(SALU_CYCLE_1)
	s_and_saveexec_b32 s13, s18
	s_cbranch_execz .LBB6_487
; %bb.486:                              ;   in Loop: Header=BB6_420 Depth=3
	v_mov_b32_e32 v3, 1
	global_wb scope:SCOPE_SYS
	s_wait_loadcnt 0x0
	s_wait_storecnt 0x0
	global_inv scope:SCOPE_SYS
.LBB6_487:                              ;   in Loop: Header=BB6_420 Depth=3
	s_or_b32 exec_lo, exec_lo, s13
.LBB6_488:                              ;   in Loop: Header=BB6_420 Depth=3
	s_delay_alu instid0(SALU_CYCLE_1) | instskip(NEXT) | instid1(VALU_DEP_1)
	s_or_b32 exec_lo, exec_lo, s17
	v_cmp_ne_u32_e32 vcc_lo, 0, v3
	s_xor_b32 s13, s4, -1
	s_delay_alu instid0(SALU_CYCLE_1) | instskip(NEXT) | instid1(SALU_CYCLE_1)
	s_and_b32 s17, vcc_lo, s13
	s_and_saveexec_b32 s13, s17
	s_cbranch_execz .LBB6_490
; %bb.489:                              ;   in Loop: Header=BB6_420 Depth=3
	global_wb scope:SCOPE_SYS
	s_wait_storecnt 0x0
	s_wait_loadcnt_dscnt 0x0
	flat_store_b32 v[34:35], v89 scope:SCOPE_SYS
.LBB6_490:                              ;   in Loop: Header=BB6_420 Depth=3
	s_wait_xcnt 0x0
	s_or_b32 exec_lo, exec_lo, s13
	v_and_b32_e32 v3, 48, v30
	s_mov_b32 s13, exec_lo
	s_delay_alu instid0(VALU_DEP_1)
	v_cmpx_ne_u32_e32 0, v3
	s_cbranch_execz .LBB6_419
; %bb.491:                              ;   in Loop: Header=BB6_420 Depth=3
	v_add_nc_u64_e32 v[112:113], 2, v[112:113]
	global_wb scope:SCOPE_SYS
	s_wait_storecnt 0x0
	s_wait_loadcnt_dscnt 0x0
	flat_store_b64 v[26:27], v[112:113] scope:SCOPE_SYS
	s_branch .LBB6_419
.LBB6_492:                              ;   in Loop: Header=BB6_47 Depth=1
	v_mul_u64_e32 v[8:9], s[22:23], v[102:103]
	v_mov_b32_e32 v40, 0
	s_delay_alu instid0(VALU_DEP_2) | instskip(NEXT) | instid1(VALU_DEP_1)
	v_sub_nc_u64_e32 v[4:5], v[114:115], v[8:9]
	v_min_i64 v[4:5], v[102:103], v[4:5]
	s_delay_alu instid0(VALU_DEP_1) | instskip(SKIP_1) | instid1(VALU_DEP_2)
	v_max_i32_e32 v92, 0, v4
	v_cmp_lt_i32_e32 vcc_lo, 0, v4
	v_add_nc_u32_e32 v3, 31, v92
	s_and_b32 s13, s61, vcc_lo
	s_delay_alu instid0(VALU_DEP_1) | instskip(NEXT) | instid1(VALU_DEP_1)
	v_lshrrev_b32_e32 v3, 1, v3
	v_and_b32_e32 v5, 0x3ffffff0, v3
	s_delay_alu instid0(VALU_DEP_1)
	v_dual_mov_b32 v3, 0 :: v_dual_max_i32 v118, s57, v5
	s_and_saveexec_b32 s43, s13
	s_cbranch_execz .LBB6_673
; %bb.493:                              ;   in Loop: Header=BB6_47 Depth=1
	v_add_nc_u64_e32 v[4:5], v[8:9], v[116:117]
	v_mov_b32_e32 v40, 0
	s_mov_b32 s74, 1
	s_mov_b32 s73, -1
	s_mov_b32 s72, 0
	s_delay_alu instid0(VALU_DEP_2)
	v_lshlrev_b64_e32 v[110:111], 2, v[4:5]
	s_branch .LBB6_495
.LBB6_494:                              ;   in Loop: Header=BB6_495 Depth=2
	s_wait_xcnt 0x0
	s_or_b32 exec_lo, exec_lo, s13
	v_dual_mov_b32 v3, s74 :: v_dual_add_nc_u32 v40, v118, v40
	s_xor_b32 s13, s73, -1
	s_mov_b32 s73, 0
	s_mov_b32 s74, 2
	s_delay_alu instid0(VALU_DEP_1) | instskip(SKIP_1) | instid1(SALU_CYCLE_1)
	v_cmp_ge_i32_e32 vcc_lo, v40, v92
	s_or_b32 s13, s13, vcc_lo
	s_and_b32 s13, exec_lo, s13
	s_delay_alu instid0(SALU_CYCLE_1) | instskip(NEXT) | instid1(SALU_CYCLE_1)
	s_or_b32 s72, s13, s72
	s_and_not1_b32 exec_lo, exec_lo, s72
	s_cbranch_execz .LBB6_672
.LBB6_495:                              ;   Parent Loop BB6_47 Depth=1
                                        ; =>  This Loop Header: Depth=2
                                        ;       Child Loop BB6_503 Depth 3
                                        ;       Child Loop BB6_531 Depth 3
	;; [unrolled: 1-line block ×5, first 2 shown]
                                        ;         Child Loop BB6_578 Depth 4
                                        ;       Child Loop BB6_592 Depth 3
                                        ;       Child Loop BB6_597 Depth 3
                                        ;         Child Loop BB6_598 Depth 4
                                        ;       Child Loop BB6_610 Depth 3
                                        ;       Child Loop BB6_615 Depth 3
                                        ;       Child Loop BB6_624 Depth 3
                                        ;       Child Loop BB6_629 Depth 3
                                        ;       Child Loop BB6_638 Depth 3
                                        ;       Child Loop BB6_657 Depth 3
	s_and_saveexec_b32 s13, s0
	s_cbranch_execz .LBB6_497
; %bb.496:                              ;   in Loop: Header=BB6_495 Depth=2
	s_trap 2
	ds_load_b64 v[4:5], v0
	ds_load_2addr_b64 v[8:11], v0 offset1:1
	s_wait_dscnt 0x1
	v_cmp_ne_u64_e32 vcc_lo, 0, v[4:5]
	v_ashrrev_i32_e32 v41, 31, v40
	v_add_nc_u64_e32 v[14:15], v[4:5], v[110:111]
	s_wait_dscnt 0x0
	v_add_nc_u64_e32 v[8:9], v[8:9], v[110:111]
	v_add_nc_u64_e32 v[10:11], v[10:11], v[110:111]
	v_lshlrev_b64_e32 v[12:13], 2, v[40:41]
	s_delay_alu instid0(VALU_DEP_1) | instskip(NEXT) | instid1(VALU_DEP_4)
	v_add_nc_u64_e32 v[14:15], v[14:15], v[12:13]
	v_add_nc_u64_e32 v[4:5], v[8:9], v[12:13]
	s_delay_alu instid0(VALU_DEP_4) | instskip(NEXT) | instid1(VALU_DEP_3)
	v_add_nc_u64_e32 v[8:9], v[10:11], v[12:13]
	v_dual_cndmask_b32 v11, 0, v15 :: v_dual_cndmask_b32 v10, 0, v14
	ds_store_b64 v0, v[4:5]
	ds_store_b64 v0, v[8:9]
	;; [unrolled: 1-line block ×3, first 2 shown]
.LBB6_497:                              ;   in Loop: Header=BB6_495 Depth=2
	s_or_b32 exec_lo, exec_lo, s13
	v_dual_sub_nc_u32 v3, v92, v40 :: v_dual_bitop2_b32 v4, 12, v30 bitop3:0x40
	s_mov_b32 s14, exec_lo
	s_delay_alu instid0(VALU_DEP_1) | instskip(NEXT) | instid1(VALU_DEP_2)
	v_min_i32_e32 v118, v118, v3
	v_cmpx_ne_u32_e32 0, v4
	s_cbranch_execz .LBB6_523
; %bb.498:                              ;   in Loop: Header=BB6_495 Depth=2
	v_dual_mov_b32 v11, v2 :: v_dual_bitop2_b32 v10, 8, v30 bitop3:0x40
	v_add_nc_u64_e32 v[8:9], 2, v[112:113]
	s_mov_b32 s15, exec_lo
	s_wait_loadcnt_dscnt 0x1
	s_delay_alu instid0(VALU_DEP_2) | instskip(NEXT) | instid1(VALU_DEP_1)
	v_add_nc_u64_e32 v[4:5], v[38:39], v[10:11]
	v_cmpx_lt_u64_e64 v[4:5], v[8:9]
	s_cbranch_execz .LBB6_510
; %bb.499:                              ;   in Loop: Header=BB6_495 Depth=2
	v_and_b32_e32 v3, 64, v30
	s_mov_b32 s16, 0
	s_mov_b32 s20, 0
                                        ; implicit-def: $sgpr17
                                        ; implicit-def: $sgpr18
                                        ; implicit-def: $sgpr19
	s_delay_alu instid0(VALU_DEP_1)
	v_cmp_eq_u32_e32 vcc_lo, 0, v3
	s_branch .LBB6_503
.LBB6_500:                              ;   in Loop: Header=BB6_503 Depth=3
	s_wait_loadcnt_dscnt 0x0
	v_add_nc_u64_e32 v[4:5], v[38:39], v[10:11]
	s_or_b32 s75, s75, exec_lo
	s_delay_alu instid0(VALU_DEP_1)
	v_cmp_ge_u64_e64 s13, v[4:5], v[8:9]
	s_or_not1_b32 s24, s13, exec_lo
.LBB6_501:                              ;   in Loop: Header=BB6_503 Depth=3
	s_or_b32 exec_lo, exec_lo, s77
	s_delay_alu instid0(SALU_CYCLE_1)
	s_and_not1_b32 s13, s19, exec_lo
	s_and_b32 s19, s75, exec_lo
	s_and_not1_b32 s18, s18, exec_lo
	s_and_b32 s24, s24, exec_lo
	s_or_b32 s19, s13, s19
	s_or_b32 s18, s18, s24
.LBB6_502:                              ;   in Loop: Header=BB6_503 Depth=3
	s_or_b32 exec_lo, exec_lo, s21
	s_delay_alu instid0(SALU_CYCLE_1) | instskip(NEXT) | instid1(SALU_CYCLE_1)
	s_and_b32 s13, exec_lo, s18
	s_or_b32 s16, s13, s16
	s_and_not1_b32 s13, s17, exec_lo
	s_and_b32 s17, s19, exec_lo
	s_delay_alu instid0(SALU_CYCLE_1)
	s_or_b32 s17, s13, s17
	s_and_not1_b32 exec_lo, exec_lo, s16
	s_cbranch_execz .LBB6_507
.LBB6_503:                              ;   Parent Loop BB6_47 Depth=1
                                        ;     Parent Loop BB6_495 Depth=2
                                        ; =>    This Inner Loop Header: Depth=3
	s_sleep 1
	s_wait_loadcnt_dscnt 0x0
	flat_load_b64 v[38:39], v[26:27] scope:SCOPE_SYS
	s_or_b32 s19, s19, exec_lo
	s_or_b32 s18, s18, exec_lo
                                        ; implicit-def: $vgpr3
	s_wait_xcnt 0x0
	s_and_saveexec_b32 s21, vcc_lo
	s_cbranch_execz .LBB6_502
; %bb.504:                              ;   in Loop: Header=BB6_503 Depth=3
	s_cmp_lt_i32 s20, 0x270f
	s_mov_b32 s24, -1
	s_cselect_b32 s76, -1, 0
	s_cmp_gt_i32 s20, 0x270e
	s_cbranch_scc0 .LBB6_506
; %bb.505:                              ;   in Loop: Header=BB6_503 Depth=3
	s_trap 2
	ds_load_b64 v[4:5], v0
	s_and_not1_b32 s20, s76, exec_lo
	s_mov_b32 s75, 0
	s_wait_storecnt 0x0
	s_wait_loadcnt_dscnt 0x0
	flat_load_b32 v3, v[4:5] scope:SCOPE_SYS
	s_wait_loadcnt_dscnt 0x0
	global_inv scope:SCOPE_SYS
	v_cmp_eq_u32_e64 s13, 0, v3
	s_and_b32 s13, s13, exec_lo
	s_delay_alu instid0(SALU_CYCLE_1)
	s_or_b32 s76, s20, s13
	s_mov_b32 s20, 0
	s_and_saveexec_b32 s77, s76
	s_cbranch_execz .LBB6_501
	s_branch .LBB6_500
.LBB6_506:                              ;   in Loop: Header=BB6_503 Depth=3
	s_add_co_i32 s20, s20, 1
	s_mov_b32 s75, -1
                                        ; implicit-def: $vgpr3
	s_and_saveexec_b32 s77, s76
	s_cbranch_execz .LBB6_501
	s_branch .LBB6_500
.LBB6_507:                              ;   in Loop: Header=BB6_495 Depth=2
	s_or_b32 exec_lo, exec_lo, s16
	s_xor_b32 s13, s17, -1
	s_delay_alu instid0(SALU_CYCLE_1) | instskip(NEXT) | instid1(SALU_CYCLE_1)
	s_and_saveexec_b32 s16, s13
	s_xor_b32 s13, exec_lo, s16
	s_cbranch_execz .LBB6_509
; %bb.508:                              ;   in Loop: Header=BB6_495 Depth=2
	v_or_b32_e32 v30, 64, v30
	s_wait_storecnt 0x0
	s_wait_loadcnt_dscnt 0x0
	ds_store_b32 v0, v3
	s_trap 2
.LBB6_509:                              ;   in Loop: Header=BB6_495 Depth=2
	s_or_b32 exec_lo, exec_lo, s13
.LBB6_510:                              ;   in Loop: Header=BB6_495 Depth=2
	s_delay_alu instid0(SALU_CYCLE_1) | instskip(SKIP_3) | instid1(VALU_DEP_1)
	s_or_b32 exec_lo, exec_lo, s15
	v_and_b32_e32 v3, 0x108, v30
	s_mov_b32 s13, exec_lo
	;;#ASMSTART
	s_wakeup
	;;#ASMEND
                                        ; implicit-def: $vgpr12_vgpr13
	v_cmpx_ne_u32_e32 0x108, v3
	s_xor_b32 s13, exec_lo, s13
; %bb.511:                              ;   in Loop: Header=BB6_495 Depth=2
	v_dual_mov_b32 v13, v2 :: v_dual_bitop2_b32 v12, 7, v112 bitop3:0x40
                                        ; implicit-def: $vgpr112_vgpr113
; %bb.512:                              ;   in Loop: Header=BB6_495 Depth=2
	s_and_not1_saveexec_b32 s13, s13
	s_cbranch_execz .LBB6_514
; %bb.513:                              ;   in Loop: Header=BB6_495 Depth=2
	v_dual_ashrrev_i32 v119, 31, v118 :: v_dual_bitop2_b32 v12, 7, v112 bitop3:0x40
	v_mov_b32_e32 v13, v2
	s_delay_alu instid0(VALU_DEP_2) | instskip(NEXT) | instid1(VALU_DEP_3)
	v_mad_nc_u64_u32 v[4:5], v12, 24, v[6:7]
	v_lshlrev_b64_e32 v[14:15], 2, v[118:119]
	flat_store_b64 v[4:5], v[14:15] offset:8
.LBB6_514:                              ;   in Loop: Header=BB6_495 Depth=2
	s_wait_xcnt 0x0
	s_or_b32 exec_lo, exec_lo, s13
	v_and_b32_e32 v3, 0x100, v30
	s_mov_b32 s13, -1
	s_mov_b32 s15, exec_lo
                                        ; implicit-def: $vgpr14_vgpr15
	s_delay_alu instid0(VALU_DEP_1)
	v_cmpx_ne_u32_e32 0, v3
	s_cbranch_execz .LBB6_518
; %bb.515:                              ;   in Loop: Header=BB6_495 Depth=2
	v_mad_nc_u64_u32 v[16:17], v12, 24, v[6:7]
	s_mov_b32 s16, exec_lo
                                        ; implicit-def: $vgpr14_vgpr15
	s_delay_alu instid0(VALU_DEP_1)
	v_mad_u32 v17, v13, 24, v17
	flat_load_b32 v3, v[16:17]
	s_wait_loadcnt_dscnt 0x0
	v_cmp_ne_u32_e32 vcc_lo, 1, v3
	s_wait_xcnt 0x0
	v_cmpx_eq_u32_e32 1, v3
	s_cbranch_execz .LBB6_517
; %bb.516:                              ;   in Loop: Header=BB6_495 Depth=2
	flat_load_b32 v4, v[16:17] offset:4 scope:SCOPE_SYS
	s_wait_loadcnt_dscnt 0x0
	v_ashrrev_i32_e32 v5, 31, v4
	s_delay_alu instid0(VALU_DEP_1)
	v_lshrrev_b64 v[14:15], 2, v[4:5]
.LBB6_517:                              ;   in Loop: Header=BB6_495 Depth=2
	s_wait_xcnt 0x0
	s_or_b32 exec_lo, exec_lo, s16
	s_delay_alu instid0(SALU_CYCLE_1)
	s_or_not1_b32 s13, vcc_lo, exec_lo
.LBB6_518:                              ;   in Loop: Header=BB6_495 Depth=2
	s_or_b32 exec_lo, exec_lo, s15
	s_and_saveexec_b32 s15, s13
; %bb.519:                              ;   in Loop: Header=BB6_495 Depth=2
	v_mul_u64_e32 v[14:15], v[12:13], v[28:29]
; %bb.520:                              ;   in Loop: Header=BB6_495 Depth=2
	s_or_b32 exec_lo, exec_lo, s15
	v_cmp_eq_u32_e32 vcc_lo, 0, v10
	v_and_b32_e32 v10, 0x2000, v30
	s_delay_alu instid0(VALU_DEP_3) | instskip(SKIP_2) | instid1(VALU_DEP_1)
	v_lshl_add_u64 v[4:5], v[14:15], 2, v[32:33]
	s_mov_b32 s13, exec_lo
	v_cndmask_b32_e32 v3, 0xd0, v90, vcc_lo
	v_add_nc_u32_e32 v3, v0, v3
	ds_store_b64 v3, v[4:5] offset:584
	v_cmpx_ne_u32_e32 0, v10
	s_cbranch_execz .LBB6_522
; %bb.521:                              ;   in Loop: Header=BB6_495 Depth=2
	ds_load_b64 v[4:5], v0 offset:872
	s_wait_dscnt 0x0
	v_add_nc_u64_e32 v[4:5], 1, v[4:5]
	ds_store_b64 v0, v[4:5] offset:872
.LBB6_522:                              ;   in Loop: Header=BB6_495 Depth=2
	s_or_b32 exec_lo, exec_lo, s13
	v_mov_b64_e32 v[112:113], v[8:9]
.LBB6_523:                              ;   in Loop: Header=BB6_495 Depth=2
	s_or_b32 exec_lo, exec_lo, s14
	s_and_saveexec_b32 s13, s2
	s_cbranch_execz .LBB6_542
; %bb.524:                              ;   in Loop: Header=BB6_495 Depth=2
	s_and_saveexec_b32 s14, s3
	s_delay_alu instid0(SALU_CYCLE_1)
	s_xor_b32 s14, exec_lo, s14
	s_cbranch_execz .LBB6_539
; %bb.525:                              ;   in Loop: Header=BB6_495 Depth=2
	s_and_saveexec_b32 s15, s6
	s_cbranch_execz .LBB6_538
; %bb.526:                              ;   in Loop: Header=BB6_495 Depth=2
	s_mov_b32 s17, exec_lo
	s_mov_b32 s16, exec_lo
	v_mbcnt_lo_u32_b32 v3, s17, 0
	global_wb scope:SCOPE_DEV
	s_wait_storecnt 0x0
	s_wait_loadcnt_dscnt 0x0
	global_inv scope:SCOPE_DEV
	v_cmpx_eq_u32_e32 0, v3
	s_cbranch_execz .LBB6_528
; %bb.527:                              ;   in Loop: Header=BB6_495 Depth=2
	s_bcnt1_i32_b32 s17, s17
	s_delay_alu instid0(SALU_CYCLE_1)
	v_dual_mov_b32 v5, v2 :: v_dual_mov_b32 v4, s17
	s_wait_loadcnt 0x0
	ds_add_u64 v0, v[4:5]
	s_trap 2
.LBB6_528:                              ;   in Loop: Header=BB6_495 Depth=2
	s_or_b32 exec_lo, exec_lo, s16
	s_trap 2
	ds_load_b64 v[4:5], v0
	s_wait_dscnt 0x0
	v_add_nc_u64_e32 v[36:37], v[36:37], v[48:49]
	s_mov_b32 s16, exec_lo
	s_delay_alu instid0(VALU_DEP_1)
	v_cmpx_lt_u64_e64 v[4:5], v[36:37]
	s_cbranch_execz .LBB6_537
; %bb.529:                              ;   in Loop: Header=BB6_495 Depth=2
	s_mov_b32 s17, 0
	s_mov_b32 s20, 0
                                        ; implicit-def: $sgpr18
                                        ; implicit-def: $sgpr19
	s_branch .LBB6_531
.LBB6_530:                              ;   in Loop: Header=BB6_531 Depth=3
	s_or_b32 exec_lo, exec_lo, s24
	s_delay_alu instid0(SALU_CYCLE_1) | instskip(NEXT) | instid1(SALU_CYCLE_1)
	s_and_b32 s21, exec_lo, s75
	s_or_b32 s17, s21, s17
	s_and_not1_b32 s18, s18, exec_lo
	s_and_b32 s21, s19, exec_lo
	s_delay_alu instid0(SALU_CYCLE_1)
	s_or_b32 s18, s18, s21
	s_and_not1_b32 exec_lo, exec_lo, s17
	s_cbranch_execz .LBB6_535
.LBB6_531:                              ;   Parent Loop BB6_47 Depth=1
                                        ;     Parent Loop BB6_495 Depth=2
                                        ; =>    This Inner Loop Header: Depth=3
	s_add_co_i32 s20, s20, 1
	s_delay_alu instid0(SALU_CYCLE_1) | instskip(SKIP_1) | instid1(SALU_CYCLE_1)
	s_cmp_lg_u32 s20, 0x2710
	s_cselect_b32 s21, -1, 0
	s_and_b32 vcc_lo, exec_lo, s21
	s_cbranch_vccz .LBB6_533
; %bb.532:                              ;   in Loop: Header=BB6_531 Depth=3
	s_mov_b32 s75, -1
	s_or_b32 s19, s19, exec_lo
	s_and_saveexec_b32 s24, s21
	s_cbranch_execz .LBB6_530
	s_branch .LBB6_534
.LBB6_533:                              ;   in Loop: Header=BB6_531 Depth=3
	s_trap 2
	ds_load_b64 v[4:5], v0
	s_and_not1_b32 s21, s21, exec_lo
	s_mov_b32 s20, 0
	s_wait_loadcnt_dscnt 0x0
	flat_load_b32 v3, v[4:5] scope:SCOPE_SYS
	s_wait_loadcnt_dscnt 0x0
	global_inv scope:SCOPE_SYS
	v_cmp_eq_u32_e32 vcc_lo, 0, v3
	s_and_b32 s24, vcc_lo, exec_lo
	s_delay_alu instid0(SALU_CYCLE_1)
	s_or_b32 s21, s21, s24
	s_mov_b32 s75, -1
	s_or_b32 s19, s19, exec_lo
	s_and_saveexec_b32 s24, s21
	s_cbranch_execz .LBB6_530
.LBB6_534:                              ;   in Loop: Header=BB6_531 Depth=3
	s_sleep 1
	s_trap 2
	ds_load_b64 v[4:5], v0
	s_wait_dscnt 0x0
	s_and_not1_b32 s19, s19, exec_lo
	v_cmp_ge_u64_e32 vcc_lo, v[4:5], v[36:37]
	s_or_not1_b32 s75, vcc_lo, exec_lo
	s_branch .LBB6_530
.LBB6_535:                              ;   in Loop: Header=BB6_495 Depth=2
	s_or_b32 exec_lo, exec_lo, s17
	s_and_saveexec_b32 s17, s18
	s_delay_alu instid0(SALU_CYCLE_1)
	s_xor_b32 s17, exec_lo, s17
	s_cbranch_execz .LBB6_537
; %bb.536:                              ;   in Loop: Header=BB6_495 Depth=2
	ds_store_b32 v0, v89
	s_trap 2
.LBB6_537:                              ;   in Loop: Header=BB6_495 Depth=2
	s_or_b32 exec_lo, exec_lo, s16
	;;#ASMSTART
	s_wakeup
	;;#ASMEND
.LBB6_538:                              ;   in Loop: Header=BB6_495 Depth=2
	s_or_b32 exec_lo, exec_lo, s15
.LBB6_539:                              ;   in Loop: Header=BB6_495 Depth=2
	s_and_not1_saveexec_b32 s14, s14
	s_cbranch_execz .LBB6_541
; %bb.540:                              ;   in Loop: Header=BB6_495 Depth=2
	global_wb scope:SCOPE_DEV
	s_wait_storecnt 0x0
	s_wait_loadcnt_dscnt 0x0
	global_inv scope:SCOPE_DEV
	s_barrier_signal -1
	s_barrier_wait -1
.LBB6_541:                              ;   in Loop: Header=BB6_495 Depth=2
	s_or_b32 exec_lo, exec_lo, s14
.LBB6_542:                              ;   in Loop: Header=BB6_495 Depth=2
	s_delay_alu instid0(SALU_CYCLE_1) | instskip(SKIP_4) | instid1(VALU_DEP_1)
	s_or_b32 exec_lo, exec_lo, s13
	s_trap 2
	ds_load_b32 v3, v0
	v_and_b32_e32 v4, 0x4000, v30
	s_xor_b32 s13, s1, -1
	v_cmp_ne_u32_e32 vcc_lo, 0, v4
	s_and_b32 s14, s13, vcc_lo
	s_delay_alu instid0(SALU_CYCLE_1)
	s_and_saveexec_b32 s13, s14
	s_cbranch_execz .LBB6_561
; %bb.543:                              ;   in Loop: Header=BB6_495 Depth=2
	s_and_saveexec_b32 s14, s3
	s_delay_alu instid0(SALU_CYCLE_1)
	s_xor_b32 s14, exec_lo, s14
	s_cbranch_execz .LBB6_558
; %bb.544:                              ;   in Loop: Header=BB6_495 Depth=2
	s_and_saveexec_b32 s15, s6
	s_cbranch_execz .LBB6_557
; %bb.545:                              ;   in Loop: Header=BB6_495 Depth=2
	s_mov_b32 s17, exec_lo
	s_mov_b32 s16, exec_lo
	v_mbcnt_lo_u32_b32 v4, s17, 0
	global_wb scope:SCOPE_DEV
	s_wait_storecnt 0x0
	s_wait_loadcnt_dscnt 0x0
	global_inv scope:SCOPE_DEV
	v_cmpx_eq_u32_e32 0, v4
	s_cbranch_execz .LBB6_547
; %bb.546:                              ;   in Loop: Header=BB6_495 Depth=2
	s_bcnt1_i32_b32 s17, s17
	s_delay_alu instid0(SALU_CYCLE_1)
	v_dual_mov_b32 v5, v2 :: v_dual_mov_b32 v4, s17
	s_wait_loadcnt 0x0
	ds_add_u64 v0, v[4:5]
	s_trap 2
.LBB6_547:                              ;   in Loop: Header=BB6_495 Depth=2
	s_or_b32 exec_lo, exec_lo, s16
	s_trap 2
	ds_load_b64 v[4:5], v0
	s_wait_dscnt 0x0
	v_add_nc_u64_e32 v[36:37], v[36:37], v[48:49]
	s_mov_b32 s16, exec_lo
	s_delay_alu instid0(VALU_DEP_1)
	v_cmpx_lt_u64_e64 v[4:5], v[36:37]
	s_cbranch_execz .LBB6_556
; %bb.548:                              ;   in Loop: Header=BB6_495 Depth=2
	s_mov_b32 s17, 0
	s_mov_b32 s20, 0
                                        ; implicit-def: $sgpr18
                                        ; implicit-def: $sgpr19
	s_branch .LBB6_550
.LBB6_549:                              ;   in Loop: Header=BB6_550 Depth=3
	s_or_b32 exec_lo, exec_lo, s24
	s_delay_alu instid0(SALU_CYCLE_1) | instskip(NEXT) | instid1(SALU_CYCLE_1)
	s_and_b32 s21, exec_lo, s75
	s_or_b32 s17, s21, s17
	s_and_not1_b32 s18, s18, exec_lo
	s_and_b32 s21, s19, exec_lo
	s_delay_alu instid0(SALU_CYCLE_1)
	s_or_b32 s18, s18, s21
	s_and_not1_b32 exec_lo, exec_lo, s17
	s_cbranch_execz .LBB6_554
.LBB6_550:                              ;   Parent Loop BB6_47 Depth=1
                                        ;     Parent Loop BB6_495 Depth=2
                                        ; =>    This Inner Loop Header: Depth=3
	s_add_co_i32 s20, s20, 1
	s_delay_alu instid0(SALU_CYCLE_1) | instskip(SKIP_1) | instid1(SALU_CYCLE_1)
	s_cmp_lg_u32 s20, 0x2710
	s_cselect_b32 s21, -1, 0
	s_and_b32 vcc_lo, exec_lo, s21
	s_cbranch_vccz .LBB6_552
; %bb.551:                              ;   in Loop: Header=BB6_550 Depth=3
	s_mov_b32 s75, -1
	s_or_b32 s19, s19, exec_lo
	s_and_saveexec_b32 s24, s21
	s_cbranch_execz .LBB6_549
	s_branch .LBB6_553
.LBB6_552:                              ;   in Loop: Header=BB6_550 Depth=3
	s_trap 2
	ds_load_b64 v[4:5], v0
	s_and_not1_b32 s21, s21, exec_lo
	s_mov_b32 s20, 0
	s_wait_loadcnt_dscnt 0x0
	flat_load_b32 v4, v[4:5] scope:SCOPE_SYS
	s_wait_loadcnt_dscnt 0x0
	global_inv scope:SCOPE_SYS
	v_cmp_eq_u32_e32 vcc_lo, 0, v4
	s_and_b32 s24, vcc_lo, exec_lo
	s_delay_alu instid0(SALU_CYCLE_1)
	s_or_b32 s21, s21, s24
	s_mov_b32 s75, -1
	s_or_b32 s19, s19, exec_lo
	s_and_saveexec_b32 s24, s21
	s_cbranch_execz .LBB6_549
.LBB6_553:                              ;   in Loop: Header=BB6_550 Depth=3
	s_sleep 1
	s_trap 2
	ds_load_b64 v[4:5], v0
	s_wait_dscnt 0x0
	s_and_not1_b32 s19, s19, exec_lo
	v_cmp_ge_u64_e32 vcc_lo, v[4:5], v[36:37]
	s_or_not1_b32 s75, vcc_lo, exec_lo
	s_branch .LBB6_549
.LBB6_554:                              ;   in Loop: Header=BB6_495 Depth=2
	s_or_b32 exec_lo, exec_lo, s17
	s_and_saveexec_b32 s17, s18
	s_delay_alu instid0(SALU_CYCLE_1)
	s_xor_b32 s17, exec_lo, s17
	s_cbranch_execz .LBB6_556
; %bb.555:                              ;   in Loop: Header=BB6_495 Depth=2
	ds_store_b32 v0, v89
	s_trap 2
.LBB6_556:                              ;   in Loop: Header=BB6_495 Depth=2
	s_or_b32 exec_lo, exec_lo, s16
	;;#ASMSTART
	s_wakeup
	;;#ASMEND
.LBB6_557:                              ;   in Loop: Header=BB6_495 Depth=2
	s_or_b32 exec_lo, exec_lo, s15
.LBB6_558:                              ;   in Loop: Header=BB6_495 Depth=2
	s_and_not1_saveexec_b32 s14, s14
	s_cbranch_execz .LBB6_560
; %bb.559:                              ;   in Loop: Header=BB6_495 Depth=2
	global_wb scope:SCOPE_DEV
	s_wait_storecnt 0x0
	s_wait_loadcnt_dscnt 0x0
	global_inv scope:SCOPE_DEV
	s_barrier_signal -1
	s_barrier_wait -1
.LBB6_560:                              ;   in Loop: Header=BB6_495 Depth=2
	s_or_b32 exec_lo, exec_lo, s14
.LBB6_561:                              ;   in Loop: Header=BB6_495 Depth=2
	s_delay_alu instid0(SALU_CYCLE_1)
	s_or_b32 exec_lo, exec_lo, s13
	s_trap 2
	ds_load_b64 v[46:47], v0
	s_wait_dscnt 0x0
	v_cmp_eq_u64_e32 vcc_lo, 0, v[46:47]
	s_cbranch_vccnz .LBB6_583
; %bb.562:                              ;   in Loop: Header=BB6_495 Depth=2
	s_trap 2
	ds_load_b64 v[4:5], v0
	s_wait_dscnt 0x0
	v_cmp_eq_u64_e32 vcc_lo, 0, v[4:5]
	s_cbranch_vccnz .LBB6_583
; %bb.563:                              ;   in Loop: Header=BB6_495 Depth=2
	s_trap 2
	ds_load_b64 v[56:57], v0
	v_cmp_eq_u32_e32 vcc_lo, 0, v3
	s_mov_b32 s13, -1
	v_cndmask_b32_e32 v119, 0, v118, vcc_lo
	s_delay_alu instid0(VALU_DEP_1)
	v_lshlrev_b32_e32 v41, 2, v119
	s_wait_dscnt 0x0
	v_cmp_ne_u64_e32 vcc_lo, 0, v[56:57]
	s_cbranch_vccz .LBB6_601
; %bb.564:                              ;   in Loop: Header=BB6_495 Depth=2
	s_and_saveexec_b32 s14, s11
	s_cbranch_execz .LBB6_566
; %bb.565:                              ;   in Loop: Header=BB6_495 Depth=2
	ds_load_b32 v3, v0 offset:720
	s_wait_dscnt 0x0
	v_and_b32_e32 v3, 15, v3
	s_delay_alu instid0(VALU_DEP_1)
	v_cmp_eq_u32_e32 vcc_lo, 0, v3
	s_or_not1_b32 s13, vcc_lo, exec_lo
.LBB6_566:                              ;   in Loop: Header=BB6_495 Depth=2
	s_or_b32 exec_lo, exec_lo, s14
	s_and_saveexec_b32 s14, s11
	s_cbranch_execz .LBB6_568
; %bb.567:                              ;   in Loop: Header=BB6_495 Depth=2
	ds_load_b32 v3, v0 offset:784
	s_wait_dscnt 0x0
	v_and_b32_e32 v3, 15, v3
	s_delay_alu instid0(VALU_DEP_1) | instskip(SKIP_3) | instid1(SALU_CYCLE_1)
	v_cmp_eq_u32_e32 vcc_lo, 0, v3
	s_and_b32 s15, s13, vcc_lo
	s_and_not1_b32 s13, s13, exec_lo
	s_and_b32 s15, s15, exec_lo
	s_or_b32 s13, s13, s15
.LBB6_568:                              ;   in Loop: Header=BB6_495 Depth=2
	s_or_b32 exec_lo, exec_lo, s14
	s_xor_b32 s13, s13, -1
	s_delay_alu instid0(SALU_CYCLE_1) | instskip(SKIP_1) | instid1(VALU_DEP_1)
	v_cndmask_b32_e64 v3, 0, 1, s13
	s_mov_b32 s13, -1
	v_cmp_ne_u32_e32 vcc_lo, 0, v3
	s_cbranch_vccz .LBB6_588
; %bb.569:                              ;   in Loop: Header=BB6_495 Depth=2
	v_alignbit_b32 v93, v56, v56, 1
	s_mov_b32 s19, -1
	s_delay_alu instid0(VALU_DEP_1)
	v_readfirstlane_b32 s14, v93
	s_and_b32 s18, s14, 0x7fffffff
	v_mov_b32_e32 v3, 0
	s_cbranch_execnz .LBB6_589
.LBB6_570:                              ;   in Loop: Header=BB6_495 Depth=2
	v_ashrrev_i32_e32 v3, 31, v41
	v_alignbit_b32 v93, v56, v56, 1
	s_mov_b32 s14, exec_lo
	s_delay_alu instid0(VALU_DEP_2) | instskip(NEXT) | instid1(VALU_DEP_2)
	v_lshrrev_b32_e32 v3, 21, v3
	v_readfirstlane_b32 s13, v93
	s_delay_alu instid0(VALU_DEP_2) | instskip(SKIP_1) | instid1(VALU_DEP_1)
	v_add_nc_u32_e32 v3, v41, v3
	s_and_b32 s18, s13, 0x7fffffff
	v_ashrrev_i32_e32 v95, 11, v3
	s_delay_alu instid0(VALU_DEP_1) | instskip(NEXT) | instid1(VALU_DEP_1)
	v_sub_nc_u32_e32 v94, v95, v88
	v_cmpx_lt_i32_e32 0, v94
	s_cbranch_execz .LBB6_574
; %bb.571:                              ;   in Loop: Header=BB6_495 Depth=2
	s_cvt_f32_u32 s13, s18
	s_trap 2
	ds_load_b64 v[8:9], v0
	s_sub_co_i32 s15, 0, s18
	v_rcp_iflag_f32_e32 v3, s13
	v_add_nc_u64_e32 v[58:59], v[46:47], v[70:71]
	v_add_nc_u64_e32 v[60:61], v[4:5], v[70:71]
	;; [unrolled: 1-line block ×3, first 2 shown]
	s_delay_alu instid0(TRANS32_DEP_1) | instskip(SKIP_1) | instid1(SALU_CYCLE_3)
	v_readfirstlane_b32 s13, v3
	s_mul_f32 s13, s13, 0x4f7ffffe
	s_cvt_u32_f32 s13, s13
	s_wait_dscnt 0x0
	v_add_nc_u64_e32 v[62:63], v[8:9], v[70:71]
	s_delay_alu instid0(SALU_CYCLE_1) | instskip(NEXT) | instid1(SALU_CYCLE_1)
	s_mul_i32 s15, s15, s13
	s_mul_hi_u32 s15, s13, s15
	s_delay_alu instid0(SALU_CYCLE_1) | instskip(NEXT) | instid1(SALU_CYCLE_1)
	s_add_co_i32 s13, s13, s15
	s_mul_hi_u32 s13, s13, -1
	s_delay_alu instid0(SALU_CYCLE_1) | instskip(SKIP_2) | instid1(SALU_CYCLE_1)
	s_mul_i32 s15, s13, s18
	s_add_co_i32 s16, s13, 1
	s_not_b32 s15, s15
	s_sub_co_i32 s17, s15, s18
	s_cmp_ge_u32 s15, s18
	s_cselect_b32 s13, s16, s13
	s_cselect_b32 s15, s17, s15
	s_add_co_i32 s16, s13, 1
	s_cmp_ge_u32 s15, s18
	s_mov_b32 s15, 0
	s_cselect_b32 s24, s16, s13
.LBB6_572:                              ;   Parent Loop BB6_47 Depth=1
                                        ;     Parent Loop BB6_495 Depth=2
                                        ; =>    This Inner Loop Header: Depth=3
	s_clause 0x3
	global_load_b128 v[8:11], v[58:59], off th:TH_LOAD_NT
	global_load_b128 v[12:15], v[58:59], off offset:512 th:TH_LOAD_NT
	global_load_b128 v[16:19], v[58:59], off offset:1024 th:TH_LOAD_NT
	;; [unrolled: 1-line block ×3, first 2 shown]
	s_clause 0x3
	global_load_b128 v[50:53], v[62:63], off th:TH_LOAD_NT
	global_load_b128 v[74:77], v[62:63], off offset:512 th:TH_LOAD_NT
	global_load_b128 v[120:123], v[62:63], off offset:1024 th:TH_LOAD_NT
	;; [unrolled: 1-line block ×3, first 2 shown]
	s_wait_xcnt 0x4
	v_add_nc_u64_e32 v[58:59], v[58:59], v[80:81]
	s_wait_xcnt 0x0
	v_add_nc_u64_e32 v[62:63], v[62:63], v[80:81]
	s_wait_loadcnt 0x3
	v_dual_mov_b32 v3, v51 :: v_dual_sub_nc_u32 v94, v94, v48
	v_dual_add_nc_u32 v50, v50, v8 :: v_dual_add_nc_u32 v51, v52, v10
	s_wait_loadcnt 0x2
	v_dual_add_nc_u32 v108, v74, v12 :: v_dual_add_nc_u32 v107, v76, v14
	s_delay_alu instid0(VALU_DEP_3)
	v_add_nc_u64_e32 v[8:9], v[2:3], v[8:9]
	s_wait_loadcnt 0x1
	v_dual_mov_b32 v3, v53 :: v_dual_add_nc_u32 v106, v120, v16
	v_add_nc_u32_e32 v105, v122, v18
	s_wait_loadcnt 0x0
	v_add_nc_u32_e32 v104, v42, v22
	s_delay_alu instid0(VALU_DEP_3) | instskip(SKIP_1) | instid1(VALU_DEP_1)
	v_add_nc_u64_e32 v[10:11], v[2:3], v[10:11]
	v_mov_b32_e32 v3, v75
	v_add_nc_u64_e32 v[12:13], v[2:3], v[12:13]
	v_mov_b32_e32 v3, v77
	s_delay_alu instid0(VALU_DEP_1) | instskip(SKIP_1) | instid1(VALU_DEP_1)
	v_add_nc_u64_e32 v[14:15], v[2:3], v[14:15]
	v_mov_b32_e32 v3, v121
	v_add_nc_u64_e32 v[16:17], v[2:3], v[16:17]
	v_mov_b32_e32 v3, v123
	s_delay_alu instid0(VALU_DEP_1) | instskip(SKIP_1) | instid1(VALU_DEP_1)
	v_add_nc_u64_e32 v[18:19], v[2:3], v[18:19]
	v_mov_b32_e32 v3, v43
	v_add_nc_u64_e32 v[76:77], v[2:3], v[22:23]
	v_dual_mov_b32 v3, v45 :: v_dual_add_nc_u32 v76, v44, v24
	v_mov_b32_e32 v23, v2
	s_delay_alu instid0(VALU_DEP_2) | instskip(SKIP_1) | instid1(VALU_DEP_1)
	v_add_nc_u64_e32 v[74:75], v[2:3], v[24:25]
	v_and_b32_e32 v3, v93, v50
	v_cmp_lt_i32_e32 vcc_lo, -1, v3
	v_sub_nc_u32_e32 v3, 0, v50
	s_delay_alu instid0(VALU_DEP_1) | instskip(NEXT) | instid1(VALU_DEP_1)
	v_cndmask_b32_e32 v22, v3, v50, vcc_lo
	v_mul_u64_e32 v[24:25], s[24:25], v[22:23]
	s_delay_alu instid0(VALU_DEP_1) | instskip(NEXT) | instid1(VALU_DEP_1)
	v_mul_lo_u32 v3, s18, v25
	v_sub_nc_u32_e32 v3, v22, v3
	s_delay_alu instid0(VALU_DEP_1) | instskip(NEXT) | instid1(VALU_DEP_1)
	v_cmp_le_u32_e64 s13, s18, v3
	v_add_co_ci_u32_e64 v3, null, 0, v25, s13
	s_delay_alu instid0(VALU_DEP_1) | instskip(NEXT) | instid1(VALU_DEP_1)
	v_sub_nc_u32_e32 v8, 0, v3
	v_dual_cndmask_b32 v8, v8, v3, vcc_lo :: v_dual_bitop2_b32 v3, v93, v9 bitop3:0x40
	s_delay_alu instid0(VALU_DEP_1) | instskip(SKIP_1) | instid1(VALU_DEP_1)
	v_cmp_lt_i32_e32 vcc_lo, -1, v3
	v_sub_nc_u32_e32 v3, 0, v9
	v_cndmask_b32_e32 v22, v3, v9, vcc_lo
	s_delay_alu instid0(VALU_DEP_1) | instskip(NEXT) | instid1(VALU_DEP_1)
	v_mul_u64_e32 v[24:25], s[24:25], v[22:23]
	v_mul_lo_u32 v3, s18, v25
	s_delay_alu instid0(VALU_DEP_1) | instskip(NEXT) | instid1(VALU_DEP_1)
	v_sub_nc_u32_e32 v3, v22, v3
	v_cmp_le_u32_e64 s13, s18, v3
	s_delay_alu instid0(VALU_DEP_1) | instskip(NEXT) | instid1(VALU_DEP_1)
	v_add_co_ci_u32_e64 v3, null, 0, v25, s13
	v_sub_nc_u32_e32 v9, 0, v3
	s_delay_alu instid0(VALU_DEP_1) | instskip(SKIP_1) | instid1(VALU_DEP_1)
	v_cndmask_b32_e32 v9, v9, v3, vcc_lo
	v_and_b32_e32 v3, v93, v51
	v_cmp_lt_i32_e32 vcc_lo, -1, v3
	v_sub_nc_u32_e32 v3, 0, v51
	s_delay_alu instid0(VALU_DEP_1) | instskip(NEXT) | instid1(VALU_DEP_1)
	v_cndmask_b32_e32 v22, v3, v51, vcc_lo
	v_mul_u64_e32 v[24:25], s[24:25], v[22:23]
	s_delay_alu instid0(VALU_DEP_1) | instskip(NEXT) | instid1(VALU_DEP_1)
	v_mul_lo_u32 v3, s18, v25
	v_sub_nc_u32_e32 v3, v22, v3
	s_delay_alu instid0(VALU_DEP_1) | instskip(NEXT) | instid1(VALU_DEP_1)
	v_cmp_le_u32_e64 s13, s18, v3
	v_add_co_ci_u32_e64 v3, null, 0, v25, s13
	s_delay_alu instid0(VALU_DEP_1) | instskip(NEXT) | instid1(VALU_DEP_1)
	v_sub_nc_u32_e32 v10, 0, v3
	v_cndmask_b32_e32 v10, v10, v3, vcc_lo
	v_and_b32_e32 v3, v93, v11
	s_delay_alu instid0(VALU_DEP_1) | instskip(SKIP_1) | instid1(VALU_DEP_1)
	v_cmp_lt_i32_e32 vcc_lo, -1, v3
	v_sub_nc_u32_e32 v3, 0, v11
	v_cndmask_b32_e32 v22, v3, v11, vcc_lo
	s_delay_alu instid0(VALU_DEP_1) | instskip(NEXT) | instid1(VALU_DEP_1)
	v_mul_u64_e32 v[24:25], s[24:25], v[22:23]
	v_mul_lo_u32 v3, s18, v25
	s_delay_alu instid0(VALU_DEP_1) | instskip(NEXT) | instid1(VALU_DEP_1)
	v_sub_nc_u32_e32 v3, v22, v3
	v_cmp_le_u32_e64 s13, s18, v3
	s_delay_alu instid0(VALU_DEP_1) | instskip(NEXT) | instid1(VALU_DEP_1)
	v_add_co_ci_u32_e64 v3, null, 0, v25, s13
	v_sub_nc_u32_e32 v11, 0, v3
	s_delay_alu instid0(VALU_DEP_1) | instskip(NEXT) | instid1(VALU_DEP_1)
	v_dual_cndmask_b32 v11, v11, v3, vcc_lo :: v_dual_bitop2_b32 v3, v93, v108 bitop3:0x40
	v_cmp_lt_i32_e32 vcc_lo, -1, v3
	v_sub_nc_u32_e32 v3, 0, v108
	s_delay_alu instid0(VALU_DEP_1) | instskip(NEXT) | instid1(VALU_DEP_1)
	v_cndmask_b32_e32 v22, v3, v108, vcc_lo
	v_mul_u64_e32 v[24:25], s[24:25], v[22:23]
	s_delay_alu instid0(VALU_DEP_1) | instskip(NEXT) | instid1(VALU_DEP_1)
	v_mul_lo_u32 v3, s18, v25
	v_sub_nc_u32_e32 v3, v22, v3
	s_delay_alu instid0(VALU_DEP_1) | instskip(NEXT) | instid1(VALU_DEP_1)
	v_cmp_le_u32_e64 s13, s18, v3
	v_add_co_ci_u32_e64 v3, null, 0, v25, s13
	s_delay_alu instid0(VALU_DEP_1) | instskip(NEXT) | instid1(VALU_DEP_1)
	v_sub_nc_u32_e32 v12, 0, v3
	v_dual_cndmask_b32 v12, v12, v3, vcc_lo :: v_dual_bitop2_b32 v3, v93, v13 bitop3:0x40
	s_delay_alu instid0(VALU_DEP_1) | instskip(SKIP_1) | instid1(VALU_DEP_1)
	v_cmp_lt_i32_e32 vcc_lo, -1, v3
	v_sub_nc_u32_e32 v3, 0, v13
	v_cndmask_b32_e32 v22, v3, v13, vcc_lo
	s_delay_alu instid0(VALU_DEP_1) | instskip(NEXT) | instid1(VALU_DEP_1)
	v_mul_u64_e32 v[24:25], s[24:25], v[22:23]
	v_mul_lo_u32 v3, s18, v25
	s_delay_alu instid0(VALU_DEP_1) | instskip(NEXT) | instid1(VALU_DEP_1)
	v_sub_nc_u32_e32 v3, v22, v3
	v_cmp_le_u32_e64 s13, s18, v3
	s_delay_alu instid0(VALU_DEP_1) | instskip(NEXT) | instid1(VALU_DEP_1)
	v_add_co_ci_u32_e64 v3, null, 0, v25, s13
	v_sub_nc_u32_e32 v13, 0, v3
	s_delay_alu instid0(VALU_DEP_1) | instskip(SKIP_1) | instid1(VALU_DEP_1)
	v_cndmask_b32_e32 v13, v13, v3, vcc_lo
	v_and_b32_e32 v3, v93, v107
	v_cmp_lt_i32_e32 vcc_lo, -1, v3
	v_sub_nc_u32_e32 v3, 0, v107
	s_delay_alu instid0(VALU_DEP_1) | instskip(NEXT) | instid1(VALU_DEP_1)
	v_cndmask_b32_e32 v22, v3, v107, vcc_lo
	v_mul_u64_e32 v[24:25], s[24:25], v[22:23]
	s_delay_alu instid0(VALU_DEP_1) | instskip(NEXT) | instid1(VALU_DEP_1)
	v_mul_lo_u32 v3, s18, v25
	v_sub_nc_u32_e32 v3, v22, v3
	s_delay_alu instid0(VALU_DEP_1) | instskip(NEXT) | instid1(VALU_DEP_1)
	v_cmp_le_u32_e64 s13, s18, v3
	v_add_co_ci_u32_e64 v3, null, 0, v25, s13
	s_delay_alu instid0(VALU_DEP_1) | instskip(NEXT) | instid1(VALU_DEP_1)
	v_sub_nc_u32_e32 v14, 0, v3
	v_cndmask_b32_e32 v14, v14, v3, vcc_lo
	v_and_b32_e32 v3, v93, v15
	s_delay_alu instid0(VALU_DEP_1) | instskip(SKIP_1) | instid1(VALU_DEP_1)
	v_cmp_lt_i32_e32 vcc_lo, -1, v3
	v_sub_nc_u32_e32 v3, 0, v15
	v_cndmask_b32_e32 v22, v3, v15, vcc_lo
	s_delay_alu instid0(VALU_DEP_1) | instskip(NEXT) | instid1(VALU_DEP_1)
	v_mul_u64_e32 v[24:25], s[24:25], v[22:23]
	v_mul_lo_u32 v3, s18, v25
	s_delay_alu instid0(VALU_DEP_1) | instskip(NEXT) | instid1(VALU_DEP_1)
	v_sub_nc_u32_e32 v3, v22, v3
	v_cmp_le_u32_e64 s13, s18, v3
	s_delay_alu instid0(VALU_DEP_1) | instskip(NEXT) | instid1(VALU_DEP_1)
	v_add_co_ci_u32_e64 v3, null, 0, v25, s13
	v_sub_nc_u32_e32 v15, 0, v3
	s_delay_alu instid0(VALU_DEP_1) | instskip(NEXT) | instid1(VALU_DEP_1)
	v_dual_cndmask_b32 v15, v15, v3, vcc_lo :: v_dual_bitop2_b32 v3, v93, v106 bitop3:0x40
	;; [unrolled: 60-line block ×3, first 2 shown]
	v_cmp_lt_i32_e32 vcc_lo, -1, v3
	v_sub_nc_u32_e32 v3, 0, v104
	s_delay_alu instid0(VALU_DEP_1) | instskip(NEXT) | instid1(VALU_DEP_1)
	v_cndmask_b32_e32 v22, v3, v104, vcc_lo
	v_mul_u64_e32 v[24:25], s[24:25], v[22:23]
	s_delay_alu instid0(VALU_DEP_1) | instskip(NEXT) | instid1(VALU_DEP_1)
	v_mul_lo_u32 v3, s18, v25
	v_sub_nc_u32_e32 v3, v22, v3
	s_delay_alu instid0(VALU_DEP_1) | instskip(NEXT) | instid1(VALU_DEP_1)
	v_cmp_le_u32_e64 s13, s18, v3
	v_add_co_ci_u32_e64 v3, null, 0, v25, s13
	s_delay_alu instid0(VALU_DEP_1) | instskip(NEXT) | instid1(VALU_DEP_1)
	v_dual_mov_b32 v25, v2 :: v_dual_sub_nc_u32 v22, 0, v3
	v_dual_cndmask_b32 v22, v22, v3, vcc_lo :: v_dual_bitop2_b32 v3, v93, v77 bitop3:0x40
	s_delay_alu instid0(VALU_DEP_1) | instskip(SKIP_1) | instid1(VALU_DEP_1)
	v_cmp_lt_i32_e32 vcc_lo, -1, v3
	v_sub_nc_u32_e32 v3, 0, v77
	v_cndmask_b32_e32 v24, v3, v77, vcc_lo
	s_delay_alu instid0(VALU_DEP_1) | instskip(NEXT) | instid1(VALU_DEP_1)
	v_mul_u64_e32 v[50:51], s[24:25], v[24:25]
	v_mul_lo_u32 v3, s18, v51
	s_delay_alu instid0(VALU_DEP_1) | instskip(NEXT) | instid1(VALU_DEP_1)
	v_sub_nc_u32_e32 v3, v24, v3
	v_cmp_le_u32_e64 s13, s18, v3
	s_delay_alu instid0(VALU_DEP_1) | instskip(NEXT) | instid1(VALU_DEP_1)
	v_add_co_ci_u32_e64 v3, null, 0, v51, s13
	v_sub_nc_u32_e32 v23, 0, v3
	s_delay_alu instid0(VALU_DEP_1) | instskip(NEXT) | instid1(VALU_DEP_1)
	v_dual_cndmask_b32 v23, v23, v3, vcc_lo :: v_dual_bitop2_b32 v3, v93, v76 bitop3:0x40
	v_cmp_lt_i32_e32 vcc_lo, -1, v3
	v_sub_nc_u32_e32 v3, 0, v76
	s_delay_alu instid0(VALU_DEP_1) | instskip(NEXT) | instid1(VALU_DEP_1)
	v_cndmask_b32_e32 v24, v3, v76, vcc_lo
	v_mul_u64_e32 v[50:51], s[24:25], v[24:25]
	s_delay_alu instid0(VALU_DEP_1) | instskip(NEXT) | instid1(VALU_DEP_1)
	v_mul_lo_u32 v3, s18, v51
	v_sub_nc_u32_e32 v3, v24, v3
	s_delay_alu instid0(VALU_DEP_1) | instskip(NEXT) | instid1(VALU_DEP_1)
	v_cmp_le_u32_e64 s13, s18, v3
	v_add_co_ci_u32_e64 v3, null, 0, v51, s13
	s_delay_alu instid0(VALU_DEP_1) | instskip(NEXT) | instid1(VALU_DEP_1)
	v_dual_mov_b32 v51, v2 :: v_dual_sub_nc_u32 v24, 0, v3
	v_cndmask_b32_e32 v24, v24, v3, vcc_lo
	v_and_b32_e32 v3, v93, v75
	s_delay_alu instid0(VALU_DEP_1) | instskip(SKIP_1) | instid1(VALU_DEP_1)
	v_cmp_lt_i32_e32 vcc_lo, -1, v3
	v_sub_nc_u32_e32 v3, 0, v75
	v_cndmask_b32_e32 v50, v3, v75, vcc_lo
	s_delay_alu instid0(VALU_DEP_1) | instskip(NEXT) | instid1(VALU_DEP_1)
	v_mul_u64_e32 v[52:53], s[24:25], v[50:51]
	v_mul_lo_u32 v3, s18, v53
	s_delay_alu instid0(VALU_DEP_1) | instskip(NEXT) | instid1(VALU_DEP_1)
	v_sub_nc_u32_e32 v3, v50, v3
	v_cmp_le_u32_e64 s13, s18, v3
	s_delay_alu instid0(VALU_DEP_1) | instskip(NEXT) | instid1(VALU_DEP_1)
	v_add_co_ci_u32_e64 v3, null, 0, v53, s13
	v_sub_nc_u32_e32 v25, 0, v3
	s_delay_alu instid0(VALU_DEP_1)
	v_cndmask_b32_e32 v25, v25, v3, vcc_lo
	s_clause 0x3
	global_store_b128 v[60:61], v[8:11], off th:TH_STORE_NT
	global_store_b128 v[60:61], v[12:15], off offset:512 th:TH_STORE_NT
	global_store_b128 v[60:61], v[16:19], off offset:1024 th:TH_STORE_NT
	;; [unrolled: 1-line block ×3, first 2 shown]
	s_clause 0x3
	global_store_b128 v[72:73], v[8:11], off th:TH_STORE_NT
	global_store_b128 v[72:73], v[12:15], off offset:512 th:TH_STORE_NT
	global_store_b128 v[72:73], v[16:19], off offset:1024 th:TH_STORE_NT
	;; [unrolled: 1-line block ×3, first 2 shown]
	s_wait_xcnt 0x4
	v_add_nc_u64_e32 v[60:61], v[60:61], v[80:81]
	s_wait_xcnt 0x0
	v_add_nc_u64_e32 v[72:73], v[72:73], v[80:81]
	v_cmp_gt_i32_e32 vcc_lo, 1, v94
	s_or_b32 s15, vcc_lo, s15
	s_delay_alu instid0(SALU_CYCLE_1)
	s_and_not1_b32 exec_lo, exec_lo, s15
	s_cbranch_execnz .LBB6_572
; %bb.573:                              ;   in Loop: Header=BB6_495 Depth=2
	s_or_b32 exec_lo, exec_lo, s15
.LBB6_574:                              ;   in Loop: Header=BB6_495 Depth=2
	s_delay_alu instid0(SALU_CYCLE_1) | instskip(SKIP_2) | instid1(VALU_DEP_1)
	s_or_b32 exec_lo, exec_lo, s14
	v_lshlrev_b32_e32 v58, 11, v95
	s_mov_b32 s20, exec_lo
                                        ; implicit-def: $vgpr16
                                        ; implicit-def: $vgpr3
                                        ; implicit-def: $vgpr17
	v_cmpx_ne_u32_e64 v41, v58
	s_cbranch_execz .LBB6_582
; %bb.575:                              ;   in Loop: Header=BB6_495 Depth=2
	v_lshlrev_b32_e32 v3, 5, v94
	s_mov_b32 s21, exec_lo
	s_delay_alu instid0(VALU_DEP_1) | instskip(NEXT) | instid1(VALU_DEP_1)
	v_dual_sub_nc_u32 v9, v41, v58 :: v_dual_sub_nc_u32 v3, v124, v3
	v_dual_ashrrev_i32 v10, 31, v9 :: v_dual_ashrrev_i32 v8, 31, v3
	s_delay_alu instid0(VALU_DEP_1) | instskip(NEXT) | instid1(VALU_DEP_1)
	v_dual_lshrrev_b32 v10, 23, v10 :: v_dual_lshrrev_b32 v8, 27, v8
	v_add_nc_u32_e32 v8, v3, v8
	s_delay_alu instid0(VALU_DEP_1) | instskip(NEXT) | instid1(VALU_DEP_1)
	v_and_b32_e32 v11, 0xffffffe0, v8
	v_dual_add_nc_u32 v10, v9, v10 :: v_dual_sub_nc_u32 v59, v3, v11
	s_delay_alu instid0(VALU_DEP_1) | instskip(SKIP_1) | instid1(VALU_DEP_2)
	v_and_b32_e32 v60, 0xfffffe00, v10
	v_dual_ashrrev_i32 v8, 5, v8 :: v_dual_ashrrev_i32 v10, 9, v10
	v_dual_lshlrev_b32 v3, 4, v59 :: v_dual_sub_nc_u32 v61, v9, v60
	s_delay_alu instid0(VALU_DEP_1) | instskip(NEXT) | instid1(VALU_DEP_2)
	v_lshl_add_u32 v3, v8, 9, v3
	v_cmp_lt_i32_e64 s13, 15, v61
	s_delay_alu instid0(VALU_DEP_1) | instskip(NEXT) | instid1(VALU_DEP_1)
	v_add_co_ci_u32_e64 v10, null, 0, v10, s13
	v_dual_sub_nc_u32 v63, v9, v3 :: v_dual_sub_nc_u32 v62, v10, v8
	s_delay_alu instid0(VALU_DEP_1)
	v_cmpx_lt_i32_e32 15, v63
	s_cbranch_execz .LBB6_581
; %bb.576:                              ;   in Loop: Header=BB6_495 Depth=2
	s_cvt_f32_u32 s14, s18
	s_trap 2
	s_sub_co_i32 s15, 0, s18
	v_add_nc_u32_e32 v10, v3, v58
	v_rcp_iflag_f32_e32 v8, s14
	s_mov_b32 s75, 0
	s_delay_alu instid0(VALU_DEP_1) | instskip(NEXT) | instid1(TRANS32_DEP_1)
	v_ashrrev_i32_e32 v11, 31, v10
	v_readfirstlane_b32 s14, v8
	ds_load_b64 v[8:9], v0
	v_add_nc_u64_e32 v[12:13], v[10:11], v[46:47]
	v_add_nc_u64_e32 v[14:15], v[10:11], v[4:5]
	;; [unrolled: 1-line block ×3, first 2 shown]
	s_mul_f32 s14, s14, 0x4f7ffffe
	s_delay_alu instid0(SALU_CYCLE_3) | instskip(NEXT) | instid1(SALU_CYCLE_3)
	s_cvt_u32_f32 s14, s14
	s_mul_i32 s15, s15, s14
	s_delay_alu instid0(SALU_CYCLE_1) | instskip(NEXT) | instid1(SALU_CYCLE_1)
	s_mul_hi_u32 s15, s14, s15
	s_add_co_i32 s14, s14, s15
	s_delay_alu instid0(SALU_CYCLE_1)
	s_mul_hi_u32 s14, s14, -1
	s_wait_dscnt 0x0
	v_add_nc_u64_e32 v[16:17], v[8:9], v[10:11]
	s_mul_i32 s15, s14, s18
	s_add_co_i32 s16, s14, 1
	s_not_b32 s15, s15
	s_delay_alu instid0(SALU_CYCLE_1)
	s_sub_co_i32 s17, s15, s18
	s_cmp_ge_u32 s15, s18
	s_cselect_b32 s14, s16, s14
	s_cselect_b32 s15, s17, s15
	s_add_co_i32 s16, s14, 1
	s_cmp_ge_u32 s15, s18
	s_cselect_b32 s24, s16, s14
.LBB6_577:                              ;   Parent Loop BB6_47 Depth=1
                                        ;     Parent Loop BB6_495 Depth=2
                                        ; =>    This Loop Header: Depth=3
                                        ;         Child Loop BB6_578 Depth 4
	global_load_b128 v[8:11], v[16:17], off th:TH_LOAD_NT
	global_load_b128 v[22:25], v[12:13], off th:TH_LOAD_NT
	v_dual_mov_b32 v50, v2 :: v_dual_mov_b32 v53, v2
	v_dual_mov_b32 v43, v2 :: v_dual_mov_b32 v45, v2
	s_mov_b32 s76, -1
	s_wait_loadcnt 0x0
	v_dual_mov_b32 v3, v9 :: v_dual_add_nc_u32 v8, v8, v22
	v_dual_mov_b32 v9, v2 :: v_dual_mov_b32 v51, v11
	v_add_nc_u32_e32 v42, v10, v24
	s_delay_alu instid0(VALU_DEP_3) | instskip(NEXT) | instid1(VALU_DEP_4)
	v_add_nc_u64_e32 v[10:11], v[2:3], v[22:23]
	v_dual_sub_nc_u32 v10, 0, v8 :: v_dual_bitop2_b32 v3, v93, v8 bitop3:0x40
	s_delay_alu instid0(VALU_DEP_4) | instskip(NEXT) | instid1(VALU_DEP_2)
	v_add_nc_u64_e32 v[22:23], v[50:51], v[24:25]
	v_cmp_lt_i32_e32 vcc_lo, -1, v3
	s_delay_alu instid0(VALU_DEP_4) | instskip(SKIP_1) | instid1(VALU_DEP_4)
	v_and_b32_e32 v3, v93, v11
	v_dual_sub_nc_u32 v72, 0, v42 :: v_dual_bitop2_b32 v44, v93, v42 bitop3:0x40
	v_sub_nc_u32_e32 v22, 0, v23
	s_delay_alu instid0(VALU_DEP_3) | instskip(NEXT) | instid1(VALU_DEP_3)
	v_cmp_lt_i32_e64 s15, -1, v3
	v_cmp_lt_i32_e64 s14, -1, v44
	v_dual_cndmask_b32 v52, v10, v8, vcc_lo :: v_dual_bitop2_b32 v10, v93, v23 bitop3:0x40
	s_delay_alu instid0(VALU_DEP_2) | instskip(NEXT) | instid1(VALU_DEP_2)
	v_dual_cndmask_b32 v44, v72, v42, s14 :: v_dual_sub_nc_u32 v8, 0, v11
	v_cmp_lt_i32_e64 s16, -1, v10
	s_delay_alu instid0(VALU_DEP_3) | instskip(NEXT) | instid1(VALU_DEP_3)
	v_mul_u64_e32 v[24:25], s[24:25], v[52:53]
	v_mul_u64_e32 v[50:51], s[24:25], v[44:45]
	s_delay_alu instid0(VALU_DEP_4) | instskip(NEXT) | instid1(VALU_DEP_4)
	v_cndmask_b32_e64 v42, v8, v11, s15
	v_cndmask_b32_e64 v8, v22, v23, s16
	s_delay_alu instid0(VALU_DEP_1) | instskip(SKIP_2) | instid1(VALU_DEP_3)
	v_mul_u64_e32 v[22:23], s[24:25], v[8:9]
	v_mul_lo_u32 v3, s18, v25
	v_mul_lo_u32 v9, s18, v51
	;; [unrolled: 1-line block ×3, first 2 shown]
	s_delay_alu instid0(VALU_DEP_2) | instskip(NEXT) | instid1(VALU_DEP_2)
	v_sub_nc_u32_e32 v9, v44, v9
	v_sub_nc_u32_e32 v8, v8, v22
	v_mul_u64_e32 v[10:11], s[24:25], v[42:43]
	s_delay_alu instid0(VALU_DEP_1) | instskip(NEXT) | instid1(VALU_DEP_1)
	v_mul_lo_u32 v10, s18, v11
	v_dual_sub_nc_u32 v3, v52, v3 :: v_dual_sub_nc_u32 v10, v42, v10
	s_delay_alu instid0(VALU_DEP_1) | instskip(NEXT) | instid1(VALU_DEP_1)
	v_cmp_le_u32_e64 s17, s18, v3
	v_add_co_ci_u32_e64 v3, null, 0, v25, s17
	v_cmp_le_u32_e64 s17, s18, v9
	s_delay_alu instid0(VALU_DEP_1) | instskip(SKIP_1) | instid1(VALU_DEP_2)
	v_add_co_ci_u32_e64 v9, null, 0, v51, s17
	v_cmp_le_u32_e64 s17, s18, v10
	v_sub_nc_u32_e32 v10, 0, v9
	s_delay_alu instid0(VALU_DEP_2) | instskip(SKIP_1) | instid1(VALU_DEP_3)
	v_add_co_ci_u32_e64 v11, null, 0, v11, s17
	v_cmp_le_u32_e64 s17, s18, v8
	v_cndmask_b32_e64 v10, v10, v9, s14
	s_delay_alu instid0(VALU_DEP_2) | instskip(SKIP_1) | instid1(VALU_DEP_2)
	v_add_co_ci_u32_e64 v22, null, 0, v23, s17
	v_sub_nc_u32_e32 v8, 0, v3
	v_dual_sub_nc_u32 v23, 0, v11 :: v_dual_sub_nc_u32 v24, 0, v22
	s_delay_alu instid0(VALU_DEP_2) | instskip(NEXT) | instid1(VALU_DEP_2)
	v_cndmask_b32_e32 v8, v8, v3, vcc_lo
	v_dual_cndmask_b32 v9, v23, v11, s15 :: v_dual_cndmask_b32 v11, v24, v22, s16
	s_mov_b64 s[16:17], 0
.LBB6_578:                              ;   Parent Loop BB6_47 Depth=1
                                        ;     Parent Loop BB6_495 Depth=2
                                        ;       Parent Loop BB6_577 Depth=3
                                        ; =>      This Inner Loop Header: Depth=4
	s_delay_alu instid0(SALU_CYCLE_1)
	s_cmp_eq_u32 s16, 1
	s_cselect_b32 vcc_lo, -1, 0
	s_cmp_eq_u32 s16, 0
	s_wait_xcnt 0x0
	v_dual_cndmask_b32 v23, v15, v19 :: v_dual_cndmask_b32 v22, v14, v18
	s_cselect_b32 s14, -1, 0
	s_and_b32 s15, exec_lo, s76
	s_mov_b64 s[16:17], 1
	s_mov_b32 s76, 0
	v_add_nc_u64_e32 v[24:25], 0x200, v[22:23]
	global_store_b128 v[22:23], v[8:11], off th:TH_STORE_NT
	v_dual_cndmask_b32 v19, v19, v25 :: v_dual_cndmask_b32 v18, v18, v24
	v_dual_cndmask_b32 v15, v15, v25, s14 :: v_dual_cndmask_b32 v14, v14, v24, s14
	s_mov_b32 vcc_lo, s15
	s_cbranch_vccnz .LBB6_578
; %bb.579:                              ;   in Loop: Header=BB6_577 Depth=3
	v_sub_nc_u32_e32 v63, v63, v64
	s_wait_xcnt 0x1
	v_add_nc_u64_e32 v[12:13], v[12:13], v[98:99]
	v_add_nc_u64_e32 v[16:17], v[16:17], v[98:99]
	;; [unrolled: 1-line block ×4, first 2 shown]
	v_cmp_gt_i32_e32 vcc_lo, 16, v63
	v_sub_nc_u32_e32 v62, v62, v48
	s_or_b32 s75, vcc_lo, s75
	s_wait_xcnt 0x0
	s_and_not1_b32 exec_lo, exec_lo, s75
	s_cbranch_execnz .LBB6_577
; %bb.580:                              ;   in Loop: Header=BB6_495 Depth=2
	s_or_b32 exec_lo, exec_lo, s75
.LBB6_581:                              ;   in Loop: Header=BB6_495 Depth=2
	s_delay_alu instid0(SALU_CYCLE_1) | instskip(NEXT) | instid1(VALU_DEP_2)
	s_or_b32 exec_lo, exec_lo, s21
	v_cmp_lt_i32_e32 vcc_lo, 0, v62
	v_dual_cndmask_b32 v8, 0, v48, vcc_lo :: v_dual_bitop2_b32 v3, 12, v41 bitop3:0x40
	s_delay_alu instid0(VALU_DEP_1) | instskip(NEXT) | instid1(VALU_DEP_1)
	v_dual_sub_nc_u32 v9, v61, v3 :: v_dual_cndmask_b32 v16, v61, v3, s13
	v_dual_sub_nc_u32 v3, v8, v62 :: v_dual_cndmask_b32 v8, 0, v9, s13
	s_delay_alu instid0(VALU_DEP_2) | instskip(SKIP_1) | instid1(VALU_DEP_2)
	v_cmp_ne_u32_e32 vcc_lo, 0, v16
	s_and_not1_b32 s13, s19, exec_lo
	v_lshl_add_u32 v17, v3, 5, v59
	s_delay_alu instid0(VALU_DEP_3) | instskip(SKIP_1) | instid1(SALU_CYCLE_1)
	v_add3_u32 v3, v60, v58, v8
	s_and_b32 s14, vcc_lo, exec_lo
	s_or_b32 s19, s13, s14
.LBB6_582:                              ;   in Loop: Header=BB6_495 Depth=2
	s_or_b32 exec_lo, exec_lo, s20
	s_and_saveexec_b32 s15, s19
	s_cbranch_execnz .LBB6_590
	s_branch .LBB6_600
.LBB6_583:                              ;   in Loop: Header=BB6_495 Depth=2
	s_mov_b32 s13, 0
	s_and_saveexec_b32 s14, s2
	s_cbranch_execnz .LBB6_631
.LBB6_584:                              ;   in Loop: Header=BB6_495 Depth=2
	s_or_b32 exec_lo, exec_lo, s14
                                        ; implicit-def: $vgpr3
	s_and_saveexec_b32 s14, s12
	s_delay_alu instid0(SALU_CYCLE_1)
	s_xor_b32 s14, exec_lo, s14
	s_cbranch_execz .LBB6_649
.LBB6_585:                              ;   in Loop: Header=BB6_495 Depth=2
	v_and_b32_e32 v3, 16, v30
	s_delay_alu instid0(VALU_DEP_1) | instskip(SKIP_2) | instid1(SALU_CYCLE_1)
	v_cmp_ne_u32_e32 vcc_lo, 0, v3
	v_and_b32_e32 v3, 16, v30
	s_and_b32 s15, vcc_lo, s13
	s_and_saveexec_b32 s13, s15
	s_cbranch_execz .LBB6_587
; %bb.586:                              ;   in Loop: Header=BB6_495 Depth=2
	v_mov_b32_e32 v3, 1
	global_wb scope:SCOPE_SYS
	s_wait_storecnt 0x0
	s_wait_loadcnt_dscnt 0x0
	global_inv scope:SCOPE_SYS
.LBB6_587:                              ;   in Loop: Header=BB6_495 Depth=2
	s_or_b32 exec_lo, exec_lo, s13
	s_and_not1_saveexec_b32 s13, s14
	s_cbranch_execz .LBB6_668
	s_branch .LBB6_650
.LBB6_588:                              ;   in Loop: Header=BB6_495 Depth=2
	s_mov_b32 s19, 0
                                        ; implicit-def: $vgpr93
                                        ; implicit-def: $sgpr18
	v_mov_b32_e32 v3, 0
	s_and_not1_b32 vcc_lo, exec_lo, s13
	s_cbranch_vccz .LBB6_570
.LBB6_589:                              ;   in Loop: Header=BB6_495 Depth=2
	v_dual_mov_b32 v16, v41 :: v_dual_mov_b32 v17, v0
	s_and_saveexec_b32 s15, s19
	s_cbranch_execz .LBB6_600
.LBB6_590:                              ;   in Loop: Header=BB6_495 Depth=2
	s_delay_alu instid0(VALU_DEP_1) | instskip(SKIP_1) | instid1(VALU_DEP_1)
	v_dual_ashrrev_i32 v8, 31, v17 :: v_dual_ashrrev_i32 v9, 31, v16
	s_mov_b32 s14, exec_lo
	v_dual_lshrrev_b32 v8, 27, v8 :: v_dual_lshrrev_b32 v9, 22, v9
	s_delay_alu instid0(VALU_DEP_1) | instskip(NEXT) | instid1(VALU_DEP_1)
	v_dual_add_nc_u32 v8, v17, v8 :: v_dual_add_nc_u32 v9, v16, v9
	v_dual_ashrrev_i32 v18, 5, v8 :: v_dual_ashrrev_i32 v58, 10, v9
	s_delay_alu instid0(VALU_DEP_1) | instskip(NEXT) | instid1(VALU_DEP_1)
	v_sub_nc_u32_e32 v19, v58, v18
	v_cmpx_lt_i32_e32 0, v19
	s_cbranch_execz .LBB6_594
; %bb.591:                              ;   in Loop: Header=BB6_495 Depth=2
	s_cvt_f32_u32 s13, s18
	v_and_b32_e32 v8, 0x3fffffe0, v8
	s_trap 2
	ds_load_b64 v[10:11], v0
	v_rcp_iflag_f32_e32 v9, s13
	s_sub_co_i32 s16, 0, s18
	v_dual_sub_nc_u32 v8, v17, v8 :: v_dual_lshlrev_b32 v12, 10, v18
	s_delay_alu instid0(VALU_DEP_1) | instskip(NEXT) | instid1(TRANS32_DEP_1)
	v_lshlrev_b32_e32 v8, 2, v8
	v_readfirstlane_b32 s13, v9
	s_delay_alu instid0(VALU_DEP_2) | instskip(SKIP_1) | instid1(SALU_CYCLE_3)
	v_add3_u32 v14, v8, v3, v12
	s_mul_f32 s13, s13, 0x4f7ffffe
	s_cvt_u32_f32 s13, s13
	s_delay_alu instid0(VALU_DEP_1) | instskip(NEXT) | instid1(SALU_CYCLE_2)
	v_ashrrev_i32_e32 v15, 31, v14
	s_mul_i32 s16, s16, s13
	s_delay_alu instid0(SALU_CYCLE_1) | instskip(NEXT) | instid1(VALU_DEP_1)
	s_mul_hi_u32 s16, s13, s16
	v_add_nc_u64_e32 v[8:9], v[14:15], v[46:47]
	s_add_co_i32 s13, s13, s16
	s_wait_dscnt 0x0
	v_add_nc_u64_e32 v[10:11], v[10:11], v[14:15]
	s_mul_hi_u32 s13, s13, -1
	v_add_nc_u64_e32 v[12:13], v[14:15], v[4:5]
	s_mul_i32 s16, s13, s18
	s_add_co_i32 s17, s13, 1
	s_not_b32 s16, s16
	v_add_nc_u64_e32 v[14:15], v[14:15], v[56:57]
	s_sub_co_i32 s19, s16, s18
	s_cmp_ge_u32 s16, s18
	s_cselect_b32 s13, s17, s13
	s_cselect_b32 s16, s19, s16
	s_add_co_i32 s17, s13, 1
	s_cmp_ge_u32 s16, s18
	s_mov_b32 s16, 0
	s_cselect_b32 s24, s17, s13
.LBB6_592:                              ;   Parent Loop BB6_47 Depth=1
                                        ;     Parent Loop BB6_495 Depth=2
                                        ; =>    This Inner Loop Header: Depth=3
	s_clause 0x7
	flat_load_b32 v22, v[8:9] th:TH_LOAD_NT
	flat_load_b32 v23, v[8:9] offset:128 th:TH_LOAD_NT
	flat_load_b32 v24, v[8:9] offset:256 th:TH_LOAD_NT
	;; [unrolled: 1-line block ×7, first 2 shown]
	s_clause 0x7
	flat_load_b32 v42, v[10:11] th:TH_LOAD_NT
	flat_load_b32 v43, v[10:11] offset:128 th:TH_LOAD_NT
	flat_load_b32 v44, v[10:11] offset:256 th:TH_LOAD_NT
	;; [unrolled: 1-line block ×7, first 2 shown]
	s_wait_xcnt 0x8
	v_add_nc_u64_e32 v[8:9], v[8:9], v[66:67]
	s_wait_xcnt 0x0
	v_add_nc_u64_e32 v[10:11], v[10:11], v[66:67]
	s_wait_loadcnt_dscnt 0x707
	v_dual_sub_nc_u32 v19, v19, v48 :: v_dual_add_nc_u32 v22, v42, v22
	s_wait_loadcnt_dscnt 0x505
	v_dual_add_nc_u32 v42, v43, v23 :: v_dual_add_nc_u32 v43, v44, v24
	s_wait_loadcnt_dscnt 0x303
	v_dual_add_nc_u32 v44, v45, v25 :: v_dual_add_nc_u32 v50, v59, v50
	s_wait_loadcnt_dscnt 0x202
	v_dual_add_nc_u32 v51, v60, v51 :: v_dual_bitop2_b32 v23, v22, v93 bitop3:0x40
	s_wait_loadcnt_dscnt 0x0
	v_dual_add_nc_u32 v60, v61, v52 :: v_dual_add_nc_u32 v59, v62, v53
	s_delay_alu instid0(VALU_DEP_2) | instskip(SKIP_1) | instid1(VALU_DEP_1)
	v_cmp_lt_i32_e32 vcc_lo, -1, v23
	v_sub_nc_u32_e32 v23, 0, v22
	v_dual_cndmask_b32 v22, v23, v22 :: v_dual_mov_b32 v23, v2
	s_delay_alu instid0(VALU_DEP_1) | instskip(NEXT) | instid1(VALU_DEP_1)
	v_mul_u64_e32 v[24:25], s[24:25], v[22:23]
	v_mul_lo_u32 v23, s18, v25
	s_delay_alu instid0(VALU_DEP_1) | instskip(NEXT) | instid1(VALU_DEP_1)
	v_sub_nc_u32_e32 v22, v22, v23
	v_cmp_le_u32_e64 s13, s18, v22
	s_delay_alu instid0(VALU_DEP_1) | instskip(NEXT) | instid1(VALU_DEP_1)
	v_add_co_ci_u32_e64 v22, null, 0, v25, s13
	v_sub_nc_u32_e32 v23, 0, v22
	s_delay_alu instid0(VALU_DEP_1) | instskip(SKIP_1) | instid1(VALU_DEP_1)
	v_dual_cndmask_b32 v61, v23, v22, vcc_lo :: v_dual_mov_b32 v23, v2
	v_and_b32_e32 v22, v42, v93
	v_cmp_lt_i32_e32 vcc_lo, -1, v22
	v_sub_nc_u32_e32 v22, 0, v42
	s_delay_alu instid0(VALU_DEP_1) | instskip(NEXT) | instid1(VALU_DEP_1)
	v_cndmask_b32_e32 v22, v22, v42, vcc_lo
	v_mul_u64_e32 v[24:25], s[24:25], v[22:23]
	s_delay_alu instid0(VALU_DEP_1) | instskip(NEXT) | instid1(VALU_DEP_1)
	v_mul_lo_u32 v23, s18, v25
	v_sub_nc_u32_e32 v22, v22, v23
	s_delay_alu instid0(VALU_DEP_1) | instskip(NEXT) | instid1(VALU_DEP_1)
	v_cmp_le_u32_e64 s13, s18, v22
	v_add_co_ci_u32_e64 v22, null, 0, v25, s13
	s_delay_alu instid0(VALU_DEP_1) | instskip(NEXT) | instid1(VALU_DEP_1)
	v_sub_nc_u32_e32 v23, 0, v22
	v_cndmask_b32_e32 v52, v23, v22, vcc_lo
	v_dual_mov_b32 v23, v2 :: v_dual_bitop2_b32 v22, v43, v93 bitop3:0x40
	s_delay_alu instid0(VALU_DEP_1) | instskip(SKIP_1) | instid1(VALU_DEP_1)
	v_cmp_lt_i32_e32 vcc_lo, -1, v22
	v_sub_nc_u32_e32 v22, 0, v43
	v_cndmask_b32_e32 v22, v22, v43, vcc_lo
	s_delay_alu instid0(VALU_DEP_1) | instskip(NEXT) | instid1(VALU_DEP_1)
	v_mul_u64_e32 v[24:25], s[24:25], v[22:23]
	v_mul_lo_u32 v23, s18, v25
	s_delay_alu instid0(VALU_DEP_1) | instskip(NEXT) | instid1(VALU_DEP_1)
	v_sub_nc_u32_e32 v22, v22, v23
	v_cmp_le_u32_e64 s13, s18, v22
	s_delay_alu instid0(VALU_DEP_1) | instskip(NEXT) | instid1(VALU_DEP_1)
	v_add_co_ci_u32_e64 v22, null, 0, v25, s13
	v_sub_nc_u32_e32 v23, 0, v22
	s_delay_alu instid0(VALU_DEP_1) | instskip(SKIP_1) | instid1(VALU_DEP_2)
	v_dual_cndmask_b32 v53, v23, v22, vcc_lo :: v_dual_bitop2_b32 v22, v44, v93 bitop3:0x40
	v_mov_b32_e32 v23, v2
	v_cmp_lt_i32_e32 vcc_lo, -1, v22
	v_sub_nc_u32_e32 v22, 0, v44
	s_delay_alu instid0(VALU_DEP_1) | instskip(NEXT) | instid1(VALU_DEP_1)
	v_cndmask_b32_e32 v22, v22, v44, vcc_lo
	v_mul_u64_e32 v[24:25], s[24:25], v[22:23]
	s_delay_alu instid0(VALU_DEP_1) | instskip(NEXT) | instid1(VALU_DEP_1)
	v_mul_lo_u32 v23, s18, v25
	v_sub_nc_u32_e32 v22, v22, v23
	s_delay_alu instid0(VALU_DEP_1) | instskip(NEXT) | instid1(VALU_DEP_1)
	v_cmp_le_u32_e64 s13, s18, v22
	v_add_co_ci_u32_e64 v22, null, 0, v25, s13
	s_delay_alu instid0(VALU_DEP_1) | instskip(NEXT) | instid1(VALU_DEP_1)
	v_sub_nc_u32_e32 v23, 0, v22
	v_dual_cndmask_b32 v42, v23, v22 :: v_dual_mov_b32 v23, v2
	v_and_b32_e32 v22, v50, v93
	s_delay_alu instid0(VALU_DEP_1) | instskip(SKIP_1) | instid1(VALU_DEP_1)
	v_cmp_lt_i32_e32 vcc_lo, -1, v22
	v_sub_nc_u32_e32 v22, 0, v50
	v_cndmask_b32_e32 v22, v22, v50, vcc_lo
	s_delay_alu instid0(VALU_DEP_1) | instskip(NEXT) | instid1(VALU_DEP_1)
	v_mul_u64_e32 v[24:25], s[24:25], v[22:23]
	v_mul_lo_u32 v23, s18, v25
	s_delay_alu instid0(VALU_DEP_1) | instskip(NEXT) | instid1(VALU_DEP_1)
	v_sub_nc_u32_e32 v22, v22, v23
	v_cmp_le_u32_e64 s13, s18, v22
	s_delay_alu instid0(VALU_DEP_1) | instskip(NEXT) | instid1(VALU_DEP_1)
	v_add_co_ci_u32_e64 v22, null, 0, v25, s13
	v_sub_nc_u32_e32 v23, 0, v22
	s_delay_alu instid0(VALU_DEP_1) | instskip(SKIP_1) | instid1(VALU_DEP_1)
	v_cndmask_b32_e32 v50, v23, v22, vcc_lo
	v_dual_mov_b32 v23, v2 :: v_dual_bitop2_b32 v22, v51, v93 bitop3:0x40
	v_cmp_lt_i32_e32 vcc_lo, -1, v22
	v_sub_nc_u32_e32 v22, 0, v51
	s_delay_alu instid0(VALU_DEP_1) | instskip(NEXT) | instid1(VALU_DEP_1)
	v_cndmask_b32_e32 v22, v22, v51, vcc_lo
	v_mul_u64_e32 v[24:25], s[24:25], v[22:23]
	s_delay_alu instid0(VALU_DEP_1) | instskip(NEXT) | instid1(VALU_DEP_1)
	v_mul_lo_u32 v23, s18, v25
	v_sub_nc_u32_e32 v22, v22, v23
	s_delay_alu instid0(VALU_DEP_1) | instskip(NEXT) | instid1(VALU_DEP_1)
	v_cmp_le_u32_e64 s13, s18, v22
	v_add_co_ci_u32_e64 v22, null, 0, v25, s13
	s_delay_alu instid0(VALU_DEP_1) | instskip(NEXT) | instid1(VALU_DEP_1)
	v_sub_nc_u32_e32 v23, 0, v22
	v_dual_cndmask_b32 v51, v23, v22, vcc_lo :: v_dual_bitop2_b32 v22, v60, v93 bitop3:0x40
	v_mov_b32_e32 v23, v2
	s_delay_alu instid0(VALU_DEP_2) | instskip(SKIP_1) | instid1(VALU_DEP_1)
	v_cmp_lt_i32_e32 vcc_lo, -1, v22
	v_sub_nc_u32_e32 v22, 0, v60
	v_cndmask_b32_e32 v22, v22, v60, vcc_lo
	s_delay_alu instid0(VALU_DEP_1) | instskip(NEXT) | instid1(VALU_DEP_1)
	v_mul_u64_e32 v[24:25], s[24:25], v[22:23]
	v_mul_lo_u32 v23, s18, v25
	s_delay_alu instid0(VALU_DEP_1) | instskip(NEXT) | instid1(VALU_DEP_1)
	v_sub_nc_u32_e32 v22, v22, v23
	v_cmp_le_u32_e64 s13, s18, v22
	s_delay_alu instid0(VALU_DEP_1) | instskip(NEXT) | instid1(VALU_DEP_1)
	v_add_co_ci_u32_e64 v22, null, 0, v25, s13
	v_sub_nc_u32_e32 v23, 0, v22
	s_delay_alu instid0(VALU_DEP_1) | instskip(SKIP_1) | instid1(VALU_DEP_1)
	v_cndmask_b32_e32 v43, v23, v22, vcc_lo
	v_dual_mov_b32 v23, v2 :: v_dual_bitop2_b32 v22, v59, v93 bitop3:0x40
	v_cmp_lt_i32_e32 vcc_lo, -1, v22
	v_sub_nc_u32_e32 v22, 0, v59
	s_delay_alu instid0(VALU_DEP_1) | instskip(NEXT) | instid1(VALU_DEP_1)
	v_cndmask_b32_e32 v22, v22, v59, vcc_lo
	v_mul_u64_e32 v[24:25], s[24:25], v[22:23]
	s_delay_alu instid0(VALU_DEP_1) | instskip(NEXT) | instid1(VALU_DEP_1)
	v_mul_lo_u32 v23, s18, v25
	v_sub_nc_u32_e32 v22, v22, v23
	s_delay_alu instid0(VALU_DEP_1) | instskip(NEXT) | instid1(VALU_DEP_1)
	v_cmp_le_u32_e64 s13, s18, v22
	v_add_co_ci_u32_e64 v22, null, 0, v25, s13
	s_delay_alu instid0(VALU_DEP_1) | instskip(NEXT) | instid1(VALU_DEP_1)
	v_sub_nc_u32_e32 v23, 0, v22
	v_cndmask_b32_e32 v22, v23, v22, vcc_lo
	s_clause 0x7
	flat_store_b32 v[12:13], v61 th:TH_STORE_NT
	flat_store_b32 v[12:13], v52 offset:128 th:TH_STORE_NT
	flat_store_b32 v[12:13], v53 offset:256 th:TH_STORE_NT
	flat_store_b32 v[12:13], v42 offset:384 th:TH_STORE_NT
	flat_store_b32 v[12:13], v50 offset:512 th:TH_STORE_NT
	flat_store_b32 v[12:13], v51 offset:640 th:TH_STORE_NT
	flat_store_b32 v[12:13], v43 offset:768 th:TH_STORE_NT
	flat_store_b32 v[12:13], v22 offset:896 th:TH_STORE_NT
	s_clause 0x7
	flat_store_b32 v[14:15], v61 th:TH_STORE_NT
	flat_store_b32 v[14:15], v52 offset:128 th:TH_STORE_NT
	flat_store_b32 v[14:15], v53 offset:256 th:TH_STORE_NT
	;; [unrolled: 1-line block ×7, first 2 shown]
	s_wait_xcnt 0x8
	v_add_nc_u64_e32 v[12:13], v[12:13], v[66:67]
	s_wait_xcnt 0x0
	v_add_nc_u64_e32 v[14:15], v[14:15], v[66:67]
	v_cmp_gt_i32_e32 vcc_lo, 1, v19
	s_or_b32 s16, vcc_lo, s16
	s_delay_alu instid0(SALU_CYCLE_1)
	s_and_not1_b32 exec_lo, exec_lo, s16
	s_cbranch_execnz .LBB6_592
; %bb.593:                              ;   in Loop: Header=BB6_495 Depth=2
	s_or_b32 exec_lo, exec_lo, s16
.LBB6_594:                              ;   in Loop: Header=BB6_495 Depth=2
	s_delay_alu instid0(SALU_CYCLE_1) | instskip(SKIP_1) | instid1(VALU_DEP_1)
	s_or_b32 exec_lo, exec_lo, s14
	v_lshlrev_b32_e32 v8, 10, v58
	v_cmp_ne_u32_e32 vcc_lo, v16, v8
	s_and_b32 exec_lo, exec_lo, vcc_lo
	s_cbranch_execz .LBB6_600
; %bb.595:                              ;   in Loop: Header=BB6_495 Depth=2
	v_dual_lshlrev_b32 v9, 5, v18 :: v_dual_lshlrev_b32 v10, 5, v19
	s_delay_alu instid0(VALU_DEP_1) | instskip(NEXT) | instid1(VALU_DEP_1)
	v_sub_nc_u32_e32 v9, v17, v9
	v_sub_nc_u32_e32 v9, v9, v10
	s_delay_alu instid0(VALU_DEP_1) | instskip(NEXT) | instid1(VALU_DEP_1)
	v_ashrrev_i32_e32 v10, 31, v9
	v_lshrrev_b32_e32 v10, 27, v10
	s_delay_alu instid0(VALU_DEP_1) | instskip(NEXT) | instid1(VALU_DEP_1)
	v_add_nc_u32_e32 v10, v9, v10
	v_and_b32_e32 v11, 0x3fffffe0, v10
	s_delay_alu instid0(VALU_DEP_1) | instskip(NEXT) | instid1(VALU_DEP_1)
	v_dual_lshlrev_b32 v10, 2, v10 :: v_dual_sub_nc_u32 v9, v9, v11
	v_and_b32_e32 v10, 0xffffff80, v10
	s_delay_alu instid0(VALU_DEP_2) | instskip(NEXT) | instid1(VALU_DEP_1)
	v_lshlrev_b32_e32 v9, 2, v9
	v_add3_u32 v8, v10, v9, v8
	s_delay_alu instid0(VALU_DEP_1) | instskip(NEXT) | instid1(VALU_DEP_1)
	v_sub_nc_u32_e32 v16, v16, v8
	v_cmp_lt_i32_e32 vcc_lo, 3, v16
	s_and_b32 exec_lo, exec_lo, vcc_lo
	s_cbranch_execz .LBB6_600
; %bb.596:                              ;   in Loop: Header=BB6_495 Depth=2
	s_cvt_f32_u32 s13, s18
	s_trap 2
	ds_load_b64 v[12:13], v0
	s_sub_co_i32 s14, 0, s18
	v_rcp_iflag_f32_e32 v9, s13
	v_add_nc_u32_e32 v14, v8, v3
	s_mov_b32 s19, 0
	s_delay_alu instid0(VALU_DEP_1) | instskip(NEXT) | instid1(TRANS32_DEP_1)
	v_ashrrev_i32_e32 v15, 31, v14
	v_readfirstlane_b32 s13, v9
	s_delay_alu instid0(VALU_DEP_2) | instskip(SKIP_2) | instid1(SALU_CYCLE_2)
	v_add_nc_u64_e32 v[8:9], v[14:15], v[46:47]
	s_mul_f32 s13, s13, 0x4f7ffffe
	v_add_nc_u64_e32 v[10:11], v[14:15], v[4:5]
	s_cvt_u32_f32 s13, s13
	s_wait_dscnt 0x0
	v_add_nc_u64_e32 v[12:13], v[12:13], v[14:15]
	v_add_nc_u64_e32 v[14:15], v[14:15], v[56:57]
	s_mul_i32 s14, s14, s13
	s_delay_alu instid0(SALU_CYCLE_1) | instskip(NEXT) | instid1(SALU_CYCLE_1)
	s_mul_hi_u32 s14, s13, s14
	s_add_co_i32 s13, s13, s14
	s_delay_alu instid0(SALU_CYCLE_1) | instskip(NEXT) | instid1(SALU_CYCLE_1)
	s_mul_hi_u32 s13, s13, -1
	s_mul_i32 s14, s13, s18
	s_add_co_i32 s16, s13, 1
	s_not_b32 s14, s14
	s_delay_alu instid0(SALU_CYCLE_1)
	s_sub_co_i32 s17, s14, s18
	s_cmp_ge_u32 s14, s18
	s_cselect_b32 s13, s16, s13
	s_cselect_b32 s14, s17, s14
	s_add_co_i32 s16, s13, 1
	s_cmp_ge_u32 s14, s18
	s_cselect_b32 s24, s16, s13
.LBB6_597:                              ;   Parent Loop BB6_47 Depth=1
                                        ;     Parent Loop BB6_495 Depth=2
                                        ; =>    This Loop Header: Depth=3
                                        ;         Child Loop BB6_598 Depth 4
	flat_load_b32 v3, v[8:9] th:TH_LOAD_NT
	flat_load_b32 v17, v[12:13] th:TH_LOAD_NT
	s_mov_b64 s[16:17], 0
	s_mov_b32 s20, -1
	s_wait_loadcnt_dscnt 0x0
	v_dual_mov_b32 v19, v2 :: v_dual_add_nc_u32 v3, v17, v3
	s_delay_alu instid0(VALU_DEP_1) | instskip(NEXT) | instid1(VALU_DEP_1)
	v_dual_sub_nc_u32 v18, 0, v3 :: v_dual_bitop2_b32 v17, v3, v93 bitop3:0x40
	v_cmp_lt_i32_e32 vcc_lo, -1, v17
	s_delay_alu instid0(VALU_DEP_2) | instskip(NEXT) | instid1(VALU_DEP_1)
	v_cndmask_b32_e32 v18, v18, v3, vcc_lo
	v_mul_u64_e32 v[22:23], s[24:25], v[18:19]
	s_delay_alu instid0(VALU_DEP_1) | instskip(NEXT) | instid1(VALU_DEP_1)
	v_mul_lo_u32 v3, s18, v23
	v_sub_nc_u32_e32 v3, v18, v3
	s_delay_alu instid0(VALU_DEP_1) | instskip(NEXT) | instid1(VALU_DEP_1)
	v_cmp_le_u32_e64 s13, s18, v3
	v_add_co_ci_u32_e64 v3, null, 0, v23, s13
	s_delay_alu instid0(VALU_DEP_1) | instskip(NEXT) | instid1(VALU_DEP_1)
	v_sub_nc_u32_e32 v17, 0, v3
	v_cndmask_b32_e32 v3, v17, v3, vcc_lo
.LBB6_598:                              ;   Parent Loop BB6_47 Depth=1
                                        ;     Parent Loop BB6_495 Depth=2
                                        ;       Parent Loop BB6_597 Depth=3
                                        ; =>      This Inner Loop Header: Depth=4
	s_cmp_eq_u32 s16, 1
	s_cselect_b32 vcc_lo, -1, 0
	s_cmp_eq_u32 s16, 0
	s_wait_xcnt 0x0
	v_dual_cndmask_b32 v19, v11, v15 :: v_dual_cndmask_b32 v18, v10, v14
	s_cselect_b32 s13, -1, 0
	s_and_b32 s14, exec_lo, s20
	s_mov_b64 s[16:17], 1
	s_mov_b32 s20, 0
	v_add_nc_u64_e32 v[22:23], 0x80, v[18:19]
	flat_store_b32 v[18:19], v3 th:TH_STORE_NT
	v_dual_cndmask_b32 v15, v15, v23 :: v_dual_cndmask_b32 v14, v14, v22
	v_dual_cndmask_b32 v11, v11, v23, s13 :: v_dual_cndmask_b32 v10, v10, v22, s13
	s_mov_b32 vcc_lo, s14
	s_cbranch_vccnz .LBB6_598
; %bb.599:                              ;   in Loop: Header=BB6_597 Depth=3
	v_sub_nc_u32_e32 v16, v16, v68
	s_wait_xcnt 0x2
	v_add_nc_u64_e32 v[8:9], v[8:9], v[100:101]
	s_wait_xcnt 0x1
	v_add_nc_u64_e32 v[12:13], v[12:13], v[100:101]
	v_add_nc_u64_e32 v[10:11], v[10:11], v[96:97]
	;; [unrolled: 1-line block ×3, first 2 shown]
	v_cmp_gt_i32_e32 vcc_lo, 4, v16
	s_or_b32 s19, vcc_lo, s19
	s_wait_xcnt 0x0
	s_and_not1_b32 exec_lo, exec_lo, s19
	s_cbranch_execnz .LBB6_597
.LBB6_600:                              ;   in Loop: Header=BB6_495 Depth=2
	s_or_b32 exec_lo, exec_lo, s15
	s_mov_b32 s13, 0
.LBB6_601:                              ;   in Loop: Header=BB6_495 Depth=2
	s_delay_alu instid0(SALU_CYCLE_1)
	s_and_b32 vcc_lo, exec_lo, s13
	s_cbranch_vccz .LBB6_619
; %bb.602:                              ;   in Loop: Header=BB6_495 Depth=2
	s_mov_b32 s13, -1
	s_and_saveexec_b32 s14, s11
	s_cbranch_execz .LBB6_604
; %bb.603:                              ;   in Loop: Header=BB6_495 Depth=2
	ds_load_b32 v3, v0 offset:720
	s_wait_dscnt 0x0
	v_and_b32_e32 v3, 15, v3
	s_delay_alu instid0(VALU_DEP_1)
	v_cmp_eq_u32_e32 vcc_lo, 0, v3
	s_or_not1_b32 s13, vcc_lo, exec_lo
.LBB6_604:                              ;   in Loop: Header=BB6_495 Depth=2
	s_or_b32 exec_lo, exec_lo, s14
	s_and_saveexec_b32 s14, s7
	s_cbranch_execz .LBB6_606
; %bb.605:                              ;   in Loop: Header=BB6_495 Depth=2
	ds_load_b32 v3, v0 offset:784
	s_wait_dscnt 0x0
	v_and_b32_e32 v3, 15, v3
	s_delay_alu instid0(VALU_DEP_1) | instskip(SKIP_3) | instid1(SALU_CYCLE_1)
	v_cmp_eq_u32_e32 vcc_lo, 0, v3
	s_and_b32 s15, s13, vcc_lo
	s_and_not1_b32 s13, s13, exec_lo
	s_and_b32 s15, s15, exec_lo
	s_or_b32 s13, s13, s15
.LBB6_606:                              ;   in Loop: Header=BB6_495 Depth=2
	s_or_b32 exec_lo, exec_lo, s14
	s_xor_b32 s13, s13, -1
	v_alignbit_b32 v74, v56, v56, 1
	v_cndmask_b32_e64 v3, 0, 1, s13
	s_mov_b32 s13, -1
	s_delay_alu instid0(VALU_DEP_1)
	v_cmp_ne_u32_e32 vcc_lo, 0, v3
	s_cbranch_vccz .LBB6_620
; %bb.607:                              ;   in Loop: Header=BB6_495 Depth=2
	v_alignbit_b32 v8, v56, v56, 1
	s_mov_b32 s18, -1
	s_delay_alu instid0(VALU_DEP_1)
	v_readfirstlane_b32 s14, v8
	s_and_b32 s75, s14, 0x7fffffff
	v_mov_b32_e32 v3, 0
	s_cbranch_execnz .LBB6_621
.LBB6_608:                              ;   in Loop: Header=BB6_495 Depth=2
	v_ashrrev_i32_e32 v3, 31, v41
	v_readfirstlane_b32 s13, v74
	s_mov_b32 s14, exec_lo
	v_lshrrev_b32_e32 v3, 21, v3
	s_and_b32 s75, s13, 0x7fffffff
	s_delay_alu instid0(VALU_DEP_1) | instskip(NEXT) | instid1(VALU_DEP_1)
	v_add_nc_u32_e32 v3, v41, v3
	v_ashrrev_i32_e32 v105, 11, v3
	s_delay_alu instid0(VALU_DEP_1) | instskip(NEXT) | instid1(VALU_DEP_1)
	v_sub_nc_u32_e32 v75, v105, v88
	v_cmpx_lt_i32_e32 0, v75
	s_cbranch_execz .LBB6_612
; %bb.609:                              ;   in Loop: Header=BB6_495 Depth=2
	s_cvt_f32_u32 s13, s75
	s_trap 2
	ds_load_b64 v[8:9], v0
	s_sub_co_i32 s15, 0, s75
	v_rcp_iflag_f32_e32 v3, s13
	v_add_nc_u64_e32 v[56:57], v[46:47], v[70:71]
	v_add_nc_u64_e32 v[60:61], v[4:5], v[70:71]
	s_delay_alu instid0(TRANS32_DEP_1) | instskip(SKIP_1) | instid1(SALU_CYCLE_3)
	v_readfirstlane_b32 s13, v3
	s_mul_f32 s13, s13, 0x4f7ffffe
	s_cvt_u32_f32 s13, s13
	s_wait_dscnt 0x0
	v_add_nc_u64_e32 v[58:59], v[8:9], v[70:71]
	s_delay_alu instid0(SALU_CYCLE_1) | instskip(NEXT) | instid1(SALU_CYCLE_1)
	s_mul_i32 s15, s15, s13
	s_mul_hi_u32 s15, s13, s15
	s_delay_alu instid0(SALU_CYCLE_1) | instskip(NEXT) | instid1(SALU_CYCLE_1)
	s_add_co_i32 s13, s13, s15
	s_mul_hi_u32 s13, s13, -1
	s_delay_alu instid0(SALU_CYCLE_1) | instskip(SKIP_2) | instid1(SALU_CYCLE_1)
	s_mul_i32 s15, s13, s75
	s_add_co_i32 s16, s13, 1
	s_not_b32 s15, s15
	s_sub_co_i32 s17, s15, s75
	s_cmp_ge_u32 s15, s75
	s_cselect_b32 s13, s16, s13
	s_cselect_b32 s15, s17, s15
	s_add_co_i32 s16, s13, 1
	s_cmp_ge_u32 s15, s75
	s_mov_b32 s15, 0
	s_cselect_b32 s24, s16, s13
.LBB6_610:                              ;   Parent Loop BB6_47 Depth=1
                                        ;     Parent Loop BB6_495 Depth=2
                                        ; =>    This Inner Loop Header: Depth=3
	s_clause 0x3
	global_load_b128 v[8:11], v[56:57], off th:TH_LOAD_NT
	global_load_b128 v[12:15], v[56:57], off offset:512 th:TH_LOAD_NT
	global_load_b128 v[16:19], v[56:57], off offset:1024 th:TH_LOAD_NT
	global_load_b128 v[106:109], v[56:57], off offset:1536 th:TH_LOAD_NT
	s_clause 0x3
	global_load_b128 v[120:123], v[58:59], off th:TH_LOAD_NT
	global_load_b128 v[22:25], v[58:59], off offset:512 th:TH_LOAD_NT
	global_load_b128 v[76:79], v[58:59], off offset:1024 th:TH_LOAD_NT
	;; [unrolled: 1-line block ×3, first 2 shown]
	s_wait_xcnt 0x4
	v_add_nc_u64_e32 v[56:57], v[56:57], v[80:81]
	s_wait_xcnt 0x0
	v_add_nc_u64_e32 v[58:59], v[58:59], v[80:81]
	s_wait_loadcnt 0x3
	v_dual_sub_nc_u32 v75, v75, v48 :: v_dual_mov_b32 v3, v121
	v_dual_add_nc_u32 v42, v120, v8 :: v_dual_add_nc_u32 v43, v122, v10
	s_wait_loadcnt 0x2
	v_dual_add_nc_u32 v104, v22, v12 :: v_dual_add_nc_u32 v95, v24, v14
	s_delay_alu instid0(VALU_DEP_3) | instskip(SKIP_3) | instid1(VALU_DEP_2)
	v_add_nc_u64_e32 v[8:9], v[2:3], v[8:9]
	s_wait_loadcnt 0x1
	v_dual_mov_b32 v3, v123 :: v_dual_add_nc_u32 v94, v76, v16
	v_add_nc_u32_e32 v93, v78, v18
	v_add_nc_u64_e32 v[10:11], v[2:3], v[10:11]
	v_dual_mov_b32 v3, v23 :: v_dual_mov_b32 v23, v2
	s_delay_alu instid0(VALU_DEP_1) | instskip(SKIP_1) | instid1(VALU_DEP_1)
	v_add_nc_u64_e32 v[12:13], v[2:3], v[12:13]
	v_mov_b32_e32 v3, v25
	v_add_nc_u64_e32 v[14:15], v[2:3], v[14:15]
	s_wait_loadcnt 0x0
	v_dual_mov_b32 v3, v77 :: v_dual_add_nc_u32 v77, v50, v106
	s_delay_alu instid0(VALU_DEP_1) | instskip(SKIP_1) | instid1(VALU_DEP_1)
	v_add_nc_u64_e32 v[16:17], v[2:3], v[16:17]
	v_mov_b32_e32 v3, v79
	v_add_nc_u64_e32 v[18:19], v[2:3], v[18:19]
	v_mov_b32_e32 v3, v51
	s_delay_alu instid0(VALU_DEP_1) | instskip(SKIP_1) | instid1(VALU_DEP_1)
	v_add_nc_u64_e32 v[72:73], v[2:3], v[106:107]
	v_dual_mov_b32 v3, v53 :: v_dual_add_nc_u32 v72, v52, v108
	v_add_nc_u64_e32 v[62:63], v[2:3], v[108:109]
	v_and_b32_e32 v3, v74, v42
	s_delay_alu instid0(VALU_DEP_1) | instskip(SKIP_1) | instid1(VALU_DEP_1)
	v_cmp_lt_i32_e32 vcc_lo, -1, v3
	v_sub_nc_u32_e32 v3, 0, v42
	v_cndmask_b32_e32 v22, v3, v42, vcc_lo
	s_delay_alu instid0(VALU_DEP_1) | instskip(NEXT) | instid1(VALU_DEP_1)
	v_mul_u64_e32 v[24:25], s[24:25], v[22:23]
	v_mul_lo_u32 v3, s75, v25
	s_delay_alu instid0(VALU_DEP_1) | instskip(NEXT) | instid1(VALU_DEP_1)
	v_sub_nc_u32_e32 v3, v22, v3
	v_cmp_le_u32_e64 s13, s75, v3
	s_delay_alu instid0(VALU_DEP_1) | instskip(NEXT) | instid1(VALU_DEP_1)
	v_add_co_ci_u32_e64 v3, null, 0, v25, s13
	v_sub_nc_u32_e32 v8, 0, v3
	s_delay_alu instid0(VALU_DEP_1) | instskip(NEXT) | instid1(VALU_DEP_1)
	v_dual_cndmask_b32 v8, v8, v3, vcc_lo :: v_dual_bitop2_b32 v3, v74, v9 bitop3:0x40
	v_cmp_lt_i32_e32 vcc_lo, -1, v3
	v_sub_nc_u32_e32 v3, 0, v9
	s_delay_alu instid0(VALU_DEP_1) | instskip(NEXT) | instid1(VALU_DEP_1)
	v_cndmask_b32_e32 v22, v3, v9, vcc_lo
	v_mul_u64_e32 v[24:25], s[24:25], v[22:23]
	s_delay_alu instid0(VALU_DEP_1) | instskip(NEXT) | instid1(VALU_DEP_1)
	v_mul_lo_u32 v3, s75, v25
	v_sub_nc_u32_e32 v3, v22, v3
	s_delay_alu instid0(VALU_DEP_1) | instskip(NEXT) | instid1(VALU_DEP_1)
	v_cmp_le_u32_e64 s13, s75, v3
	v_add_co_ci_u32_e64 v3, null, 0, v25, s13
	s_delay_alu instid0(VALU_DEP_1) | instskip(NEXT) | instid1(VALU_DEP_1)
	v_sub_nc_u32_e32 v9, 0, v3
	v_cndmask_b32_e32 v9, v9, v3, vcc_lo
	v_and_b32_e32 v3, v74, v43
	s_delay_alu instid0(VALU_DEP_1) | instskip(SKIP_1) | instid1(VALU_DEP_1)
	v_cmp_lt_i32_e32 vcc_lo, -1, v3
	v_sub_nc_u32_e32 v3, 0, v43
	v_cndmask_b32_e32 v22, v3, v43, vcc_lo
	s_delay_alu instid0(VALU_DEP_1) | instskip(NEXT) | instid1(VALU_DEP_1)
	v_mul_u64_e32 v[24:25], s[24:25], v[22:23]
	v_mul_lo_u32 v3, s75, v25
	s_delay_alu instid0(VALU_DEP_1) | instskip(NEXT) | instid1(VALU_DEP_1)
	v_sub_nc_u32_e32 v3, v22, v3
	v_cmp_le_u32_e64 s13, s75, v3
	s_delay_alu instid0(VALU_DEP_1) | instskip(NEXT) | instid1(VALU_DEP_1)
	v_add_co_ci_u32_e64 v3, null, 0, v25, s13
	v_sub_nc_u32_e32 v10, 0, v3
	s_delay_alu instid0(VALU_DEP_1) | instskip(SKIP_1) | instid1(VALU_DEP_1)
	v_cndmask_b32_e32 v10, v10, v3, vcc_lo
	v_and_b32_e32 v3, v74, v11
	v_cmp_lt_i32_e32 vcc_lo, -1, v3
	v_sub_nc_u32_e32 v3, 0, v11
	s_delay_alu instid0(VALU_DEP_1) | instskip(NEXT) | instid1(VALU_DEP_1)
	v_cndmask_b32_e32 v22, v3, v11, vcc_lo
	v_mul_u64_e32 v[24:25], s[24:25], v[22:23]
	s_delay_alu instid0(VALU_DEP_1) | instskip(NEXT) | instid1(VALU_DEP_1)
	v_mul_lo_u32 v3, s75, v25
	v_sub_nc_u32_e32 v3, v22, v3
	s_delay_alu instid0(VALU_DEP_1) | instskip(NEXT) | instid1(VALU_DEP_1)
	v_cmp_le_u32_e64 s13, s75, v3
	v_add_co_ci_u32_e64 v3, null, 0, v25, s13
	s_delay_alu instid0(VALU_DEP_1) | instskip(NEXT) | instid1(VALU_DEP_1)
	v_sub_nc_u32_e32 v11, 0, v3
	v_dual_cndmask_b32 v11, v11, v3, vcc_lo :: v_dual_bitop2_b32 v3, v74, v104 bitop3:0x40
	s_delay_alu instid0(VALU_DEP_1) | instskip(SKIP_1) | instid1(VALU_DEP_1)
	v_cmp_lt_i32_e32 vcc_lo, -1, v3
	v_sub_nc_u32_e32 v3, 0, v104
	v_cndmask_b32_e32 v22, v3, v104, vcc_lo
	s_delay_alu instid0(VALU_DEP_1) | instskip(NEXT) | instid1(VALU_DEP_1)
	v_mul_u64_e32 v[24:25], s[24:25], v[22:23]
	v_mul_lo_u32 v3, s75, v25
	s_delay_alu instid0(VALU_DEP_1) | instskip(NEXT) | instid1(VALU_DEP_1)
	v_sub_nc_u32_e32 v3, v22, v3
	v_cmp_le_u32_e64 s13, s75, v3
	s_delay_alu instid0(VALU_DEP_1) | instskip(NEXT) | instid1(VALU_DEP_1)
	v_add_co_ci_u32_e64 v3, null, 0, v25, s13
	v_sub_nc_u32_e32 v12, 0, v3
	s_delay_alu instid0(VALU_DEP_1) | instskip(NEXT) | instid1(VALU_DEP_1)
	v_dual_cndmask_b32 v12, v12, v3, vcc_lo :: v_dual_bitop2_b32 v3, v74, v13 bitop3:0x40
	v_cmp_lt_i32_e32 vcc_lo, -1, v3
	v_sub_nc_u32_e32 v3, 0, v13
	s_delay_alu instid0(VALU_DEP_1) | instskip(NEXT) | instid1(VALU_DEP_1)
	v_cndmask_b32_e32 v22, v3, v13, vcc_lo
	v_mul_u64_e32 v[24:25], s[24:25], v[22:23]
	s_delay_alu instid0(VALU_DEP_1) | instskip(NEXT) | instid1(VALU_DEP_1)
	v_mul_lo_u32 v3, s75, v25
	v_sub_nc_u32_e32 v3, v22, v3
	s_delay_alu instid0(VALU_DEP_1) | instskip(NEXT) | instid1(VALU_DEP_1)
	v_cmp_le_u32_e64 s13, s75, v3
	v_add_co_ci_u32_e64 v3, null, 0, v25, s13
	s_delay_alu instid0(VALU_DEP_1) | instskip(NEXT) | instid1(VALU_DEP_1)
	v_sub_nc_u32_e32 v13, 0, v3
	v_cndmask_b32_e32 v13, v13, v3, vcc_lo
	v_and_b32_e32 v3, v74, v95
	s_delay_alu instid0(VALU_DEP_1) | instskip(SKIP_1) | instid1(VALU_DEP_1)
	v_cmp_lt_i32_e32 vcc_lo, -1, v3
	v_sub_nc_u32_e32 v3, 0, v95
	v_cndmask_b32_e32 v22, v3, v95, vcc_lo
	s_delay_alu instid0(VALU_DEP_1) | instskip(NEXT) | instid1(VALU_DEP_1)
	v_mul_u64_e32 v[24:25], s[24:25], v[22:23]
	v_mul_lo_u32 v3, s75, v25
	s_delay_alu instid0(VALU_DEP_1) | instskip(NEXT) | instid1(VALU_DEP_1)
	v_sub_nc_u32_e32 v3, v22, v3
	v_cmp_le_u32_e64 s13, s75, v3
	s_delay_alu instid0(VALU_DEP_1) | instskip(NEXT) | instid1(VALU_DEP_1)
	v_add_co_ci_u32_e64 v3, null, 0, v25, s13
	v_sub_nc_u32_e32 v14, 0, v3
	s_delay_alu instid0(VALU_DEP_1) | instskip(SKIP_1) | instid1(VALU_DEP_1)
	v_cndmask_b32_e32 v14, v14, v3, vcc_lo
	v_and_b32_e32 v3, v74, v15
	v_cmp_lt_i32_e32 vcc_lo, -1, v3
	v_sub_nc_u32_e32 v3, 0, v15
	s_delay_alu instid0(VALU_DEP_1) | instskip(NEXT) | instid1(VALU_DEP_1)
	v_cndmask_b32_e32 v22, v3, v15, vcc_lo
	v_mul_u64_e32 v[24:25], s[24:25], v[22:23]
	s_delay_alu instid0(VALU_DEP_1) | instskip(NEXT) | instid1(VALU_DEP_1)
	v_mul_lo_u32 v3, s75, v25
	v_sub_nc_u32_e32 v3, v22, v3
	s_delay_alu instid0(VALU_DEP_1) | instskip(NEXT) | instid1(VALU_DEP_1)
	v_cmp_le_u32_e64 s13, s75, v3
	v_add_co_ci_u32_e64 v3, null, 0, v25, s13
	s_delay_alu instid0(VALU_DEP_1) | instskip(NEXT) | instid1(VALU_DEP_1)
	v_sub_nc_u32_e32 v15, 0, v3
	v_dual_cndmask_b32 v15, v15, v3, vcc_lo :: v_dual_bitop2_b32 v3, v74, v94 bitop3:0x40
	s_delay_alu instid0(VALU_DEP_1) | instskip(SKIP_1) | instid1(VALU_DEP_1)
	v_cmp_lt_i32_e32 vcc_lo, -1, v3
	v_sub_nc_u32_e32 v3, 0, v94
	v_cndmask_b32_e32 v22, v3, v94, vcc_lo
	s_delay_alu instid0(VALU_DEP_1) | instskip(NEXT) | instid1(VALU_DEP_1)
	v_mul_u64_e32 v[24:25], s[24:25], v[22:23]
	v_mul_lo_u32 v3, s75, v25
	s_delay_alu instid0(VALU_DEP_1) | instskip(NEXT) | instid1(VALU_DEP_1)
	v_sub_nc_u32_e32 v3, v22, v3
	v_cmp_le_u32_e64 s13, s75, v3
	s_delay_alu instid0(VALU_DEP_1) | instskip(NEXT) | instid1(VALU_DEP_1)
	v_add_co_ci_u32_e64 v3, null, 0, v25, s13
	v_sub_nc_u32_e32 v16, 0, v3
	s_delay_alu instid0(VALU_DEP_1) | instskip(NEXT) | instid1(VALU_DEP_1)
	v_dual_cndmask_b32 v16, v16, v3, vcc_lo :: v_dual_bitop2_b32 v3, v74, v17 bitop3:0x40
	v_cmp_lt_i32_e32 vcc_lo, -1, v3
	v_sub_nc_u32_e32 v3, 0, v17
	s_delay_alu instid0(VALU_DEP_1) | instskip(NEXT) | instid1(VALU_DEP_1)
	v_cndmask_b32_e32 v22, v3, v17, vcc_lo
	v_mul_u64_e32 v[24:25], s[24:25], v[22:23]
	s_delay_alu instid0(VALU_DEP_1) | instskip(NEXT) | instid1(VALU_DEP_1)
	v_mul_lo_u32 v3, s75, v25
	v_sub_nc_u32_e32 v3, v22, v3
	s_delay_alu instid0(VALU_DEP_1) | instskip(NEXT) | instid1(VALU_DEP_1)
	v_cmp_le_u32_e64 s13, s75, v3
	v_add_co_ci_u32_e64 v3, null, 0, v25, s13
	s_delay_alu instid0(VALU_DEP_1) | instskip(NEXT) | instid1(VALU_DEP_1)
	v_sub_nc_u32_e32 v17, 0, v3
	v_dual_cndmask_b32 v17, v17, v3, vcc_lo :: v_dual_bitop2_b32 v3, v74, v93 bitop3:0x40
	s_delay_alu instid0(VALU_DEP_1) | instskip(SKIP_1) | instid1(VALU_DEP_1)
	v_cmp_lt_i32_e32 vcc_lo, -1, v3
	v_sub_nc_u32_e32 v3, 0, v93
	v_cndmask_b32_e32 v22, v3, v93, vcc_lo
	s_delay_alu instid0(VALU_DEP_1) | instskip(NEXT) | instid1(VALU_DEP_1)
	v_mul_u64_e32 v[24:25], s[24:25], v[22:23]
	v_mul_lo_u32 v3, s75, v25
	s_delay_alu instid0(VALU_DEP_1) | instskip(NEXT) | instid1(VALU_DEP_1)
	v_sub_nc_u32_e32 v3, v22, v3
	v_cmp_le_u32_e64 s13, s75, v3
	s_delay_alu instid0(VALU_DEP_1) | instskip(NEXT) | instid1(VALU_DEP_1)
	v_add_co_ci_u32_e64 v3, null, 0, v25, s13
	v_sub_nc_u32_e32 v18, 0, v3
	s_delay_alu instid0(VALU_DEP_1) | instskip(SKIP_1) | instid1(VALU_DEP_1)
	v_cndmask_b32_e32 v18, v18, v3, vcc_lo
	v_and_b32_e32 v3, v74, v19
	v_cmp_lt_i32_e32 vcc_lo, -1, v3
	v_sub_nc_u32_e32 v3, 0, v19
	s_delay_alu instid0(VALU_DEP_1) | instskip(NEXT) | instid1(VALU_DEP_1)
	v_cndmask_b32_e32 v22, v3, v19, vcc_lo
	v_mul_u64_e32 v[24:25], s[24:25], v[22:23]
	s_delay_alu instid0(VALU_DEP_1) | instskip(NEXT) | instid1(VALU_DEP_1)
	v_mul_lo_u32 v3, s75, v25
	v_sub_nc_u32_e32 v3, v22, v3
	s_delay_alu instid0(VALU_DEP_1) | instskip(NEXT) | instid1(VALU_DEP_1)
	v_cmp_le_u32_e64 s13, s75, v3
	v_add_co_ci_u32_e64 v3, null, 0, v25, s13
	s_delay_alu instid0(VALU_DEP_1) | instskip(NEXT) | instid1(VALU_DEP_1)
	v_sub_nc_u32_e32 v19, 0, v3
	v_dual_cndmask_b32 v19, v19, v3, vcc_lo :: v_dual_bitop2_b32 v3, v74, v77 bitop3:0x40
	s_delay_alu instid0(VALU_DEP_1) | instskip(SKIP_1) | instid1(VALU_DEP_1)
	v_cmp_lt_i32_e32 vcc_lo, -1, v3
	v_sub_nc_u32_e32 v3, 0, v77
	v_cndmask_b32_e32 v22, v3, v77, vcc_lo
	s_delay_alu instid0(VALU_DEP_1) | instskip(NEXT) | instid1(VALU_DEP_1)
	v_mul_u64_e32 v[24:25], s[24:25], v[22:23]
	v_mul_lo_u32 v3, s75, v25
	s_delay_alu instid0(VALU_DEP_1) | instskip(NEXT) | instid1(VALU_DEP_1)
	v_sub_nc_u32_e32 v3, v22, v3
	v_cmp_le_u32_e64 s13, s75, v3
	s_delay_alu instid0(VALU_DEP_1) | instskip(NEXT) | instid1(VALU_DEP_1)
	v_add_co_ci_u32_e64 v3, null, 0, v25, s13
	v_dual_mov_b32 v25, v2 :: v_dual_sub_nc_u32 v22, 0, v3
	s_delay_alu instid0(VALU_DEP_1) | instskip(SKIP_1) | instid1(VALU_DEP_1)
	v_cndmask_b32_e32 v22, v22, v3, vcc_lo
	v_and_b32_e32 v3, v74, v73
	v_cmp_lt_i32_e32 vcc_lo, -1, v3
	v_sub_nc_u32_e32 v3, 0, v73
	s_delay_alu instid0(VALU_DEP_1) | instskip(NEXT) | instid1(VALU_DEP_1)
	v_cndmask_b32_e32 v24, v3, v73, vcc_lo
	v_mul_u64_e32 v[50:51], s[24:25], v[24:25]
	s_delay_alu instid0(VALU_DEP_1) | instskip(NEXT) | instid1(VALU_DEP_1)
	v_mul_lo_u32 v3, s75, v51
	v_sub_nc_u32_e32 v3, v24, v3
	s_delay_alu instid0(VALU_DEP_1) | instskip(NEXT) | instid1(VALU_DEP_1)
	v_cmp_le_u32_e64 s13, s75, v3
	v_add_co_ci_u32_e64 v3, null, 0, v51, s13
	s_delay_alu instid0(VALU_DEP_1) | instskip(NEXT) | instid1(VALU_DEP_1)
	v_sub_nc_u32_e32 v23, 0, v3
	v_dual_cndmask_b32 v23, v23, v3, vcc_lo :: v_dual_bitop2_b32 v3, v74, v72 bitop3:0x40
	s_delay_alu instid0(VALU_DEP_1) | instskip(SKIP_1) | instid1(VALU_DEP_1)
	v_cmp_lt_i32_e32 vcc_lo, -1, v3
	v_sub_nc_u32_e32 v3, 0, v72
	v_cndmask_b32_e32 v24, v3, v72, vcc_lo
	s_delay_alu instid0(VALU_DEP_1) | instskip(NEXT) | instid1(VALU_DEP_1)
	v_mul_u64_e32 v[50:51], s[24:25], v[24:25]
	v_mul_lo_u32 v3, s75, v51
	s_delay_alu instid0(VALU_DEP_1) | instskip(NEXT) | instid1(VALU_DEP_1)
	v_sub_nc_u32_e32 v3, v24, v3
	v_cmp_le_u32_e64 s13, s75, v3
	s_delay_alu instid0(VALU_DEP_1) | instskip(NEXT) | instid1(VALU_DEP_1)
	v_add_co_ci_u32_e64 v3, null, 0, v51, s13
	v_dual_mov_b32 v51, v2 :: v_dual_sub_nc_u32 v24, 0, v3
	s_delay_alu instid0(VALU_DEP_1) | instskip(SKIP_1) | instid1(VALU_DEP_1)
	v_cndmask_b32_e32 v24, v24, v3, vcc_lo
	v_and_b32_e32 v3, v74, v63
	v_cmp_lt_i32_e32 vcc_lo, -1, v3
	v_sub_nc_u32_e32 v3, 0, v63
	s_delay_alu instid0(VALU_DEP_1) | instskip(NEXT) | instid1(VALU_DEP_1)
	v_cndmask_b32_e32 v50, v3, v63, vcc_lo
	v_mul_u64_e32 v[52:53], s[24:25], v[50:51]
	s_delay_alu instid0(VALU_DEP_1) | instskip(NEXT) | instid1(VALU_DEP_1)
	v_mul_lo_u32 v3, s75, v53
	v_sub_nc_u32_e32 v3, v50, v3
	s_delay_alu instid0(VALU_DEP_1) | instskip(NEXT) | instid1(VALU_DEP_1)
	v_cmp_le_u32_e64 s13, s75, v3
	v_add_co_ci_u32_e64 v3, null, 0, v53, s13
	s_delay_alu instid0(VALU_DEP_1) | instskip(NEXT) | instid1(VALU_DEP_1)
	v_sub_nc_u32_e32 v25, 0, v3
	v_cndmask_b32_e32 v25, v25, v3, vcc_lo
	s_clause 0x3
	global_store_b128 v[60:61], v[8:11], off th:TH_STORE_NT
	global_store_b128 v[60:61], v[12:15], off offset:512 th:TH_STORE_NT
	global_store_b128 v[60:61], v[16:19], off offset:1024 th:TH_STORE_NT
	;; [unrolled: 1-line block ×3, first 2 shown]
	s_wait_xcnt 0x0
	v_add_nc_u64_e32 v[60:61], v[60:61], v[80:81]
	v_cmp_gt_i32_e32 vcc_lo, 1, v75
	s_or_b32 s15, vcc_lo, s15
	s_delay_alu instid0(SALU_CYCLE_1)
	s_and_not1_b32 exec_lo, exec_lo, s15
	s_cbranch_execnz .LBB6_610
; %bb.611:                              ;   in Loop: Header=BB6_495 Depth=2
	s_or_b32 exec_lo, exec_lo, s15
.LBB6_612:                              ;   in Loop: Header=BB6_495 Depth=2
	s_delay_alu instid0(SALU_CYCLE_1) | instskip(SKIP_2) | instid1(VALU_DEP_1)
	s_or_b32 exec_lo, exec_lo, s14
	v_lshlrev_b32_e32 v14, 11, v105
	s_mov_b32 s19, exec_lo
                                        ; implicit-def: $vgpr3
                                        ; implicit-def: $vgpr58
	v_cmpx_ne_u32_e64 v41, v14
	s_cbranch_execz .LBB6_618
; %bb.613:                              ;   in Loop: Header=BB6_495 Depth=2
	v_dual_lshlrev_b32 v3, 5, v75 :: v_dual_sub_nc_u32 v9, v41, v14
	s_mov_b32 s20, exec_lo
	s_delay_alu instid0(VALU_DEP_1) | instskip(NEXT) | instid1(VALU_DEP_1)
	v_dual_sub_nc_u32 v3, v124, v3 :: v_dual_ashrrev_i32 v10, 31, v9
	v_dual_ashrrev_i32 v8, 31, v3 :: v_dual_lshrrev_b32 v10, 23, v10
	s_delay_alu instid0(VALU_DEP_1) | instskip(NEXT) | instid1(VALU_DEP_1)
	v_lshrrev_b32_e32 v8, 27, v8
	v_add_nc_u32_e32 v8, v3, v8
	s_delay_alu instid0(VALU_DEP_1) | instskip(NEXT) | instid1(VALU_DEP_1)
	v_and_b32_e32 v11, 0xffffffe0, v8
	v_dual_add_nc_u32 v10, v9, v10 :: v_dual_sub_nc_u32 v15, v3, v11
	s_delay_alu instid0(VALU_DEP_1) | instskip(SKIP_1) | instid1(VALU_DEP_2)
	v_and_b32_e32 v16, 0xfffffe00, v10
	v_dual_ashrrev_i32 v8, 5, v8 :: v_dual_ashrrev_i32 v10, 9, v10
	v_dual_lshlrev_b32 v3, 4, v15 :: v_dual_sub_nc_u32 v17, v9, v16
	s_delay_alu instid0(VALU_DEP_1) | instskip(NEXT) | instid1(VALU_DEP_2)
	v_lshl_add_u32 v3, v8, 9, v3
	v_cmp_lt_i32_e32 vcc_lo, 15, v17
	s_delay_alu instid0(VALU_DEP_4) | instskip(NEXT) | instid1(VALU_DEP_1)
	v_add_co_ci_u32_e64 v10, null, 0, v10, vcc_lo
	v_dual_sub_nc_u32 v19, v9, v3 :: v_dual_sub_nc_u32 v18, v10, v8
	s_delay_alu instid0(VALU_DEP_1)
	v_cmpx_lt_i32_e32 15, v19
	s_cbranch_execz .LBB6_617
; %bb.614:                              ;   in Loop: Header=BB6_495 Depth=2
	s_cvt_f32_u32 s13, s75
	s_trap 2
	ds_load_b64 v[10:11], v0
	s_sub_co_i32 s14, 0, s75
	v_rcp_iflag_f32_e32 v8, s13
	v_add_nc_u32_e32 v12, v3, v14
	s_mov_b32 s21, 0
	s_delay_alu instid0(VALU_DEP_1) | instskip(NEXT) | instid1(TRANS32_DEP_1)
	v_ashrrev_i32_e32 v13, 31, v12
	v_readfirstlane_b32 s13, v8
	s_delay_alu instid0(VALU_DEP_2) | instskip(SKIP_1) | instid1(SALU_CYCLE_3)
	v_add_nc_u64_e32 v[8:9], v[12:13], v[46:47]
	s_mul_f32 s13, s13, 0x4f7ffffe
	s_cvt_u32_f32 s13, s13
	s_wait_dscnt 0x0
	v_add_nc_u64_e32 v[10:11], v[10:11], v[12:13]
	v_add_nc_u64_e32 v[12:13], v[12:13], v[4:5]
	s_mul_i32 s14, s14, s13
	s_delay_alu instid0(SALU_CYCLE_1) | instskip(NEXT) | instid1(SALU_CYCLE_1)
	s_mul_hi_u32 s14, s13, s14
	s_add_co_i32 s13, s13, s14
	s_delay_alu instid0(SALU_CYCLE_1) | instskip(NEXT) | instid1(SALU_CYCLE_1)
	s_mul_hi_u32 s13, s13, -1
	s_mul_i32 s14, s13, s75
	s_add_co_i32 s15, s13, 1
	s_not_b32 s14, s14
	s_delay_alu instid0(SALU_CYCLE_1)
	s_sub_co_i32 s16, s14, s75
	s_cmp_ge_u32 s14, s75
	s_cselect_b32 s13, s15, s13
	s_cselect_b32 s14, s16, s14
	s_add_co_i32 s15, s13, 1
	s_cmp_ge_u32 s14, s75
	s_cselect_b32 s24, s15, s13
.LBB6_615:                              ;   Parent Loop BB6_47 Depth=1
                                        ;     Parent Loop BB6_495 Depth=2
                                        ; =>    This Inner Loop Header: Depth=3
	global_load_b128 v[22:25], v[10:11], off th:TH_LOAD_NT
	global_load_b128 v[50:53], v[8:9], off th:TH_LOAD_NT
	v_dual_mov_b32 v61, v2 :: v_dual_mov_b32 v42, v2
	v_dual_mov_b32 v45, v2 :: v_dual_mov_b32 v57, v2
	v_mov_b32_e32 v59, v2
	s_wait_xcnt 0x0
	v_add_nc_u64_e32 v[8:9], v[8:9], v[64:65]
	v_add_nc_u64_e32 v[10:11], v[10:11], v[64:65]
	v_sub_nc_u32_e32 v19, v19, v64
	s_wait_loadcnt 0x1
	v_dual_mov_b32 v3, v23 :: v_dual_sub_nc_u32 v18, v18, v48
	s_wait_loadcnt 0x0
	v_dual_add_nc_u32 v44, v22, v50 :: v_dual_add_nc_u32 v56, v24, v52
	v_mov_b32_e32 v43, v25
	s_delay_alu instid0(VALU_DEP_3) | instskip(NEXT) | instid1(VALU_DEP_3)
	v_add_nc_u64_e32 v[22:23], v[2:3], v[50:51]
	v_dual_sub_nc_u32 v22, 0, v44 :: v_dual_bitop2_b32 v3, v74, v44 bitop3:0x40
	s_delay_alu instid0(VALU_DEP_4) | instskip(NEXT) | instid1(VALU_DEP_4)
	v_dual_sub_nc_u32 v51, 0, v56 :: v_dual_bitop2_b32 v50, v74, v56 bitop3:0x40
	v_add_nc_u64_e32 v[24:25], v[42:43], v[52:53]
	s_delay_alu instid0(VALU_DEP_3) | instskip(SKIP_1) | instid1(VALU_DEP_4)
	v_cmp_lt_i32_e64 s13, -1, v3
	v_and_b32_e32 v3, v74, v23
	v_cmp_lt_i32_e64 s14, -1, v50
	s_delay_alu instid0(VALU_DEP_3) | instskip(NEXT) | instid1(VALU_DEP_2)
	v_dual_cndmask_b32 v44, v22, v44, s13 :: v_dual_sub_nc_u32 v22, 0, v23
	v_dual_cndmask_b32 v58, v51, v56, s14 :: v_dual_bitop2_b32 v24, v74, v25 bitop3:0x40
	s_delay_alu instid0(VALU_DEP_4) | instskip(NEXT) | instid1(VALU_DEP_3)
	v_cmp_lt_i32_e64 s15, -1, v3
	v_mul_u64_e32 v[50:51], s[24:25], v[44:45]
	v_sub_nc_u32_e32 v42, 0, v25
	s_delay_alu instid0(VALU_DEP_4) | instskip(SKIP_2) | instid1(VALU_DEP_2)
	v_mul_u64_e32 v[52:53], s[24:25], v[58:59]
	v_cmp_lt_i32_e64 s16, -1, v24
	v_cndmask_b32_e64 v56, v22, v23, s15
	v_cndmask_b32_e64 v60, v42, v25, s16
	s_delay_alu instid0(VALU_DEP_2) | instskip(NEXT) | instid1(VALU_DEP_2)
	v_mul_u64_e32 v[22:23], s[24:25], v[56:57]
	v_mul_u64_e32 v[24:25], s[24:25], v[60:61]
	v_mul_lo_u32 v3, s75, v51
	v_mul_lo_u32 v22, s75, v53
	s_delay_alu instid0(VALU_DEP_4) | instskip(NEXT) | instid1(VALU_DEP_2)
	v_mul_lo_u32 v24, s75, v23
	v_dual_sub_nc_u32 v3, v44, v3 :: v_dual_sub_nc_u32 v22, v58, v22
	v_mul_lo_u32 v50, s75, v25
	s_delay_alu instid0(VALU_DEP_2) | instskip(NEXT) | instid1(VALU_DEP_1)
	v_cmp_le_u32_e64 s17, s75, v3
	v_add_co_ci_u32_e64 v3, null, 0, v51, s17
	s_delay_alu instid0(VALU_DEP_4) | instskip(NEXT) | instid1(VALU_DEP_1)
	v_cmp_le_u32_e64 s17, s75, v22
	v_add_co_ci_u32_e64 v51, null, 0, v53, s17
	v_sub_nc_u32_e32 v22, v56, v24
	v_sub_nc_u32_e32 v24, v60, v50
	s_delay_alu instid0(VALU_DEP_2) | instskip(SKIP_1) | instid1(VALU_DEP_2)
	v_cmp_le_u32_e64 s17, s75, v22
	v_sub_nc_u32_e32 v22, 0, v3
	v_add_co_ci_u32_e64 v23, null, 0, v23, s17
	s_delay_alu instid0(VALU_DEP_4) | instskip(SKIP_1) | instid1(VALU_DEP_2)
	v_cmp_le_u32_e64 s17, s75, v24
	v_sub_nc_u32_e32 v24, 0, v51
	v_add_co_ci_u32_e64 v25, null, 0, v25, s17
	s_delay_alu instid0(VALU_DEP_4) | instskip(NEXT) | instid1(VALU_DEP_2)
	v_sub_nc_u32_e32 v50, 0, v23
	v_dual_cndmask_b32 v24, v24, v51, s14 :: v_dual_sub_nc_u32 v52, 0, v25
	v_cndmask_b32_e64 v22, v22, v3, s13
	s_delay_alu instid0(VALU_DEP_3) | instskip(SKIP_1) | instid1(VALU_DEP_4)
	v_cndmask_b32_e64 v23, v50, v23, s15
	v_cmp_gt_i32_e64 s13, 16, v19
	v_cndmask_b32_e64 v25, v52, v25, s16
	s_or_b32 s21, s13, s21
	global_store_b128 v[12:13], v[22:25], off th:TH_STORE_NT
	s_wait_xcnt 0x0
	v_add_nc_u64_e32 v[12:13], v[12:13], v[64:65]
	s_and_not1_b32 exec_lo, exec_lo, s21
	s_cbranch_execnz .LBB6_615
; %bb.616:                              ;   in Loop: Header=BB6_495 Depth=2
	s_or_b32 exec_lo, exec_lo, s21
.LBB6_617:                              ;   in Loop: Header=BB6_495 Depth=2
	s_delay_alu instid0(SALU_CYCLE_1) | instskip(NEXT) | instid1(VALU_DEP_2)
	s_or_b32 exec_lo, exec_lo, s20
	v_cmp_lt_i32_e64 s13, 0, v18
	s_delay_alu instid0(VALU_DEP_1) | instskip(NEXT) | instid1(VALU_DEP_1)
	v_dual_cndmask_b32 v8, 0, v48, s13 :: v_dual_bitop2_b32 v3, 12, v41 bitop3:0x40
	v_dual_sub_nc_u32 v9, v17, v3 :: v_dual_cndmask_b32 v41, v17, v3, vcc_lo
	s_and_not1_b32 s13, s18, exec_lo
	s_delay_alu instid0(VALU_DEP_1) | instskip(NEXT) | instid1(VALU_DEP_2)
	v_dual_cndmask_b32 v8, 0, v9 :: v_dual_sub_nc_u32 v3, v8, v18
	v_cmp_ne_u32_e32 vcc_lo, 0, v41
	s_delay_alu instid0(VALU_DEP_2) | instskip(NEXT) | instid1(VALU_DEP_3)
	v_lshl_add_u32 v58, v3, 5, v15
	v_add3_u32 v3, v16, v14, v8
	s_and_b32 s14, vcc_lo, exec_lo
	s_delay_alu instid0(SALU_CYCLE_1)
	s_or_b32 s18, s13, s14
.LBB6_618:                              ;   in Loop: Header=BB6_495 Depth=2
	s_or_b32 exec_lo, exec_lo, s19
	s_and_saveexec_b32 s76, s18
	s_cbranch_execnz .LBB6_622
	s_branch .LBB6_630
.LBB6_619:                              ;   in Loop: Header=BB6_495 Depth=2
	v_cmp_lt_i32_e64 s13, 0, v119
	s_and_saveexec_b32 s14, s2
	s_cbranch_execnz .LBB6_631
	s_branch .LBB6_584
.LBB6_620:                              ;   in Loop: Header=BB6_495 Depth=2
	s_mov_b32 s18, 0
                                        ; implicit-def: $vgpr8
                                        ; implicit-def: $sgpr75
	v_mov_b32_e32 v3, 0
	s_and_not1_b32 vcc_lo, exec_lo, s13
	s_cbranch_vccz .LBB6_608
.LBB6_621:                              ;   in Loop: Header=BB6_495 Depth=2
	v_dual_mov_b32 v58, v0 :: v_dual_mov_b32 v74, v8
	s_and_saveexec_b32 s76, s18
	s_cbranch_execz .LBB6_630
.LBB6_622:                              ;   in Loop: Header=BB6_495 Depth=2
	s_delay_alu instid0(VALU_DEP_1) | instskip(SKIP_1) | instid1(VALU_DEP_1)
	v_dual_ashrrev_i32 v8, 31, v58 :: v_dual_ashrrev_i32 v9, 31, v41
	s_mov_b32 s77, exec_lo
	v_dual_lshrrev_b32 v8, 27, v8 :: v_dual_lshrrev_b32 v9, 22, v9
	s_delay_alu instid0(VALU_DEP_1) | instskip(NEXT) | instid1(VALU_DEP_1)
	v_dual_add_nc_u32 v8, v58, v8 :: v_dual_add_nc_u32 v9, v41, v9
	v_dual_ashrrev_i32 v59, 5, v8 :: v_dual_ashrrev_i32 v61, 10, v9
	s_delay_alu instid0(VALU_DEP_1) | instskip(NEXT) | instid1(VALU_DEP_1)
	v_sub_nc_u32_e32 v60, v61, v59
	v_cmpx_lt_i32_e32 0, v60
	s_cbranch_execz .LBB6_626
; %bb.623:                              ;   in Loop: Header=BB6_495 Depth=2
	s_cvt_f32_u32 s13, s75
	v_and_b32_e32 v8, 0x3fffffe0, v8
	s_trap 2
	ds_load_b64 v[10:11], v0
	v_rcp_iflag_f32_e32 v9, s13
	s_sub_co_i32 s14, 0, s75
	v_sub_nc_u32_e32 v8, v58, v8
	v_add_nc_u64_e32 v[14:15], 0x380, v[4:5]
	s_mov_b32 s78, 0
	s_delay_alu instid0(TRANS32_DEP_1) | instskip(NEXT) | instid1(VALU_DEP_3)
	v_readfirstlane_b32 s13, v9
	v_dual_lshlrev_b32 v9, 10, v59 :: v_dual_lshlrev_b32 v8, 2, v8
	s_mul_f32 s13, s13, 0x4f7ffffe
	s_delay_alu instid0(VALU_DEP_1) | instskip(NEXT) | instid1(SALU_CYCLE_2)
	v_add3_u32 v12, v8, v3, v9
	s_cvt_u32_f32 s13, s13
	s_delay_alu instid0(VALU_DEP_1) | instskip(NEXT) | instid1(SALU_CYCLE_2)
	v_ashrrev_i32_e32 v13, 31, v12
	s_mul_i32 s14, s14, s13
	s_delay_alu instid0(SALU_CYCLE_1) | instskip(NEXT) | instid1(VALU_DEP_1)
	s_mul_hi_u32 s14, s13, s14
	v_add_nc_u64_e32 v[8:9], v[12:13], v[46:47]
	s_add_co_i32 s13, s13, s14
	s_wait_dscnt 0x0
	v_add_nc_u64_e32 v[10:11], v[10:11], v[12:13]
	s_mul_hi_u32 s13, s13, -1
	v_add_nc_u64_e32 v[12:13], v[14:15], v[12:13]
	s_mul_i32 s14, s13, s75
	s_add_co_i32 s15, s13, 1
	s_not_b32 s14, s14
	s_delay_alu instid0(SALU_CYCLE_1)
	s_sub_co_i32 s16, s14, s75
	s_cmp_ge_u32 s14, s75
	s_cselect_b32 s13, s15, s13
	s_cselect_b32 s14, s16, s14
	s_add_co_i32 s15, s13, 1
	s_cmp_ge_u32 s14, s75
	s_cselect_b32 s24, s15, s13
.LBB6_624:                              ;   Parent Loop BB6_47 Depth=1
                                        ;     Parent Loop BB6_495 Depth=2
                                        ; =>    This Inner Loop Header: Depth=3
	s_clause 0x7
	flat_load_b32 v14, v[8:9] th:TH_LOAD_NT
	flat_load_b32 v16, v[8:9] offset:128 th:TH_LOAD_NT
	flat_load_b32 v18, v[8:9] offset:256 th:TH_LOAD_NT
	;; [unrolled: 1-line block ×7, first 2 shown]
	s_clause 0x7
	flat_load_b32 v43, v[10:11] th:TH_LOAD_NT
	flat_load_b32 v44, v[10:11] offset:128 th:TH_LOAD_NT
	flat_load_b32 v45, v[10:11] offset:256 th:TH_LOAD_NT
	;; [unrolled: 1-line block ×7, first 2 shown]
	v_dual_mov_b32 v53, v2 :: v_dual_mov_b32 v15, v2
	v_dual_mov_b32 v17, v2 :: v_dual_mov_b32 v19, v2
	;; [unrolled: 1-line block ×3, first 2 shown]
	v_dual_mov_b32 v25, v2 :: v_dual_sub_nc_u32 v60, v60, v48
	v_mov_b32_e32 v51, v2
	s_wait_xcnt 0x8
	v_add_nc_u64_e32 v[8:9], v[8:9], v[66:67]
	s_wait_xcnt 0x0
	v_add_nc_u64_e32 v[10:11], v[10:11], v[66:67]
	v_cmp_gt_i32_e32 vcc_lo, 1, v60
	s_or_b32 s78, vcc_lo, s78
	s_wait_loadcnt_dscnt 0x606
	v_dual_add_nc_u32 v14, v43, v14 :: v_dual_add_nc_u32 v16, v44, v16
	s_wait_loadcnt_dscnt 0x505
	v_add_nc_u32_e32 v18, v45, v18
	s_wait_loadcnt_dscnt 0x303
	v_dual_add_nc_u32 v22, v56, v22 :: v_dual_add_nc_u32 v24, v62, v24
	s_wait_loadcnt_dscnt 0x101
	v_dual_add_nc_u32 v50, v63, v50 :: v_dual_add_nc_u32 v52, v72, v52
	v_sub_nc_u32_e32 v44, 0, v14
	s_wait_loadcnt_dscnt 0x0
	v_dual_add_nc_u32 v42, v73, v42 :: v_dual_sub_nc_u32 v56, 0, v16
	v_dual_sub_nc_u32 v76, 0, v24 :: v_dual_bitop2_b32 v43, v14, v74 bitop3:0x40
	v_dual_sub_nc_u32 v93, 0, v52 :: v_dual_bitop2_b32 v79, v52, v74 bitop3:0x40
	v_and_b32_e32 v75, v24, v74
	s_delay_alu instid0(VALU_DEP_3) | instskip(SKIP_1) | instid1(VALU_DEP_4)
	v_cmp_lt_i32_e64 s13, -1, v43
	v_sub_nc_u32_e32 v95, 0, v42
	v_cmp_lt_i32_e64 s19, -1, v79
	v_and_b32_e32 v45, v16, v74
	v_cmp_lt_i32_e64 s17, -1, v75
	v_cndmask_b32_e64 v14, v44, v14, s13
	v_sub_nc_u32_e32 v73, 0, v22
	v_sub_nc_u32_e32 v63, 0, v18
	v_cmp_lt_i32_e64 s14, -1, v45
	s_delay_alu instid0(VALU_DEP_1) | instskip(NEXT) | instid1(VALU_DEP_1)
	v_dual_cndmask_b32 v16, v56, v16, s14 :: v_dual_bitop2_b32 v62, v18, v74 bitop3:0x40
	v_cmp_lt_i32_e64 s15, -1, v62
	s_delay_alu instid0(VALU_DEP_2) | instskip(NEXT) | instid1(VALU_DEP_1)
	v_mul_u64_e32 v[44:45], s[24:25], v[16:17]
	v_mul_lo_u32 v17, s75, v45
	v_and_b32_e32 v72, v22, v74
	s_delay_alu instid0(VALU_DEP_1) | instskip(NEXT) | instid1(VALU_DEP_1)
	v_cmp_lt_i32_e64 s16, -1, v72
	v_cndmask_b32_e64 v56, v73, v22, s16
	v_dual_cndmask_b32 v22, v76, v24, s17 :: v_dual_bitop2_b32 v77, v50, v74 bitop3:0x40
	v_sub_nc_u32_e32 v78, 0, v50
	v_cndmask_b32_e64 v18, v63, v18, s15
	s_delay_alu instid0(VALU_DEP_4) | instskip(NEXT) | instid1(VALU_DEP_4)
	v_mul_u64_e32 v[72:73], s[24:25], v[56:57]
	v_cmp_lt_i32_e64 s18, -1, v77
	v_mul_u64_e32 v[76:77], s[24:25], v[22:23]
	s_delay_alu instid0(VALU_DEP_4) | instskip(NEXT) | instid1(VALU_DEP_3)
	v_mul_u64_e32 v[62:63], s[24:25], v[18:19]
	v_cndmask_b32_e64 v24, v78, v50, s18
	v_dual_cndmask_b32 v50, v93, v52, s19 :: v_dual_bitop2_b32 v94, v42, v74 bitop3:0x40
	s_delay_alu instid0(VALU_DEP_2) | instskip(NEXT) | instid1(VALU_DEP_2)
	v_mul_u64_e32 v[78:79], s[24:25], v[24:25]
	v_cmp_lt_i32_e64 s20, -1, v94
	s_delay_alu instid0(VALU_DEP_1) | instskip(SKIP_2) | instid1(VALU_DEP_3)
	v_cndmask_b32_e64 v52, v95, v42, s20
	v_mul_u64_e32 v[42:43], s[24:25], v[14:15]
	v_mul_u64_e32 v[94:95], s[24:25], v[50:51]
	;; [unrolled: 1-line block ×3, first 2 shown]
	v_mul_lo_u32 v23, s75, v73
	v_mul_lo_u32 v25, s75, v77
	;; [unrolled: 1-line block ×7, first 2 shown]
	s_delay_alu instid0(VALU_DEP_3) | instskip(SKIP_2) | instid1(VALU_DEP_3)
	v_dual_sub_nc_u32 v14, v14, v15 :: v_dual_sub_nc_u32 v15, v16, v17
	v_sub_nc_u32_e32 v16, v18, v19
	v_dual_sub_nc_u32 v17, v56, v23 :: v_dual_sub_nc_u32 v18, v22, v25
	v_cmp_le_u32_e64 s21, s75, v14
	v_dual_sub_nc_u32 v19, v24, v51 :: v_dual_sub_nc_u32 v22, v50, v53
	v_sub_nc_u32_e32 v23, v52, v42
	s_delay_alu instid0(VALU_DEP_3) | instskip(SKIP_1) | instid1(VALU_DEP_1)
	v_add_co_ci_u32_e64 v14, null, 0, v43, s21
	v_cmp_le_u32_e64 s21, s75, v15
	v_add_co_ci_u32_e64 v15, null, 0, v45, s21
	v_cmp_le_u32_e64 s21, s75, v16
	s_delay_alu instid0(VALU_DEP_2) | instskip(NEXT) | instid1(VALU_DEP_2)
	v_dual_sub_nc_u32 v25, 0, v15 :: v_dual_sub_nc_u32 v24, 0, v14
	v_add_co_ci_u32_e64 v16, null, 0, v63, s21
	v_cmp_le_u32_e64 s21, s75, v17
	s_delay_alu instid0(VALU_DEP_2) | instskip(NEXT) | instid1(VALU_DEP_2)
	v_dual_cndmask_b32 v15, v25, v15, s14 :: v_dual_sub_nc_u32 v50, 0, v16
	v_add_co_ci_u32_e64 v17, null, 0, v73, s21
	v_cmp_le_u32_e64 s21, s75, v18
	s_delay_alu instid0(VALU_DEP_2) | instskip(NEXT) | instid1(VALU_DEP_2)
	v_dual_cndmask_b32 v16, v50, v16, s15 :: v_dual_sub_nc_u32 v51, 0, v17
	;; [unrolled: 4-line block ×3, first 2 shown]
	v_add_co_ci_u32_e64 v19, null, 0, v79, s21
	v_cmp_le_u32_e64 s21, s75, v22
	s_delay_alu instid0(VALU_DEP_2) | instskip(NEXT) | instid1(VALU_DEP_2)
	v_dual_sub_nc_u32 v53, 0, v19 :: v_dual_cndmask_b32 v14, v24, v14, s13
	v_add_co_ci_u32_e64 v22, null, 0, v95, s21
	v_cmp_le_u32_e64 s21, s75, v23
	s_delay_alu instid0(VALU_DEP_2) | instskip(NEXT) | instid1(VALU_DEP_2)
	v_dual_cndmask_b32 v19, v53, v19, s18 :: v_dual_sub_nc_u32 v42, 0, v22
	v_add_co_ci_u32_e64 v23, null, 0, v105, s21
	s_delay_alu instid0(VALU_DEP_1) | instskip(NEXT) | instid1(VALU_DEP_1)
	v_dual_cndmask_b32 v22, v42, v22, s19 :: v_dual_sub_nc_u32 v43, 0, v23
	v_dual_cndmask_b32 v18, v52, v18, s17 :: v_dual_cndmask_b32 v23, v43, v23, s20
	s_clause 0x7
	flat_store_b32 v[12:13], v14 offset:-896 th:TH_STORE_NT
	flat_store_b32 v[12:13], v15 offset:-768 th:TH_STORE_NT
	;; [unrolled: 1-line block ×7, first 2 shown]
	flat_store_b32 v[12:13], v23 th:TH_STORE_NT
	s_wait_xcnt 0x0
	v_add_nc_u64_e32 v[12:13], v[12:13], v[66:67]
	s_and_not1_b32 exec_lo, exec_lo, s78
	s_cbranch_execnz .LBB6_624
; %bb.625:                              ;   in Loop: Header=BB6_495 Depth=2
	s_or_b32 exec_lo, exec_lo, s78
.LBB6_626:                              ;   in Loop: Header=BB6_495 Depth=2
	s_delay_alu instid0(SALU_CYCLE_1) | instskip(SKIP_1) | instid1(VALU_DEP_1)
	s_or_b32 exec_lo, exec_lo, s77
	v_lshlrev_b32_e32 v8, 10, v61
	v_cmp_ne_u32_e32 vcc_lo, v41, v8
	s_and_b32 exec_lo, exec_lo, vcc_lo
	s_cbranch_execz .LBB6_630
; %bb.627:                              ;   in Loop: Header=BB6_495 Depth=2
	v_dual_lshlrev_b32 v9, 5, v59 :: v_dual_lshlrev_b32 v10, 5, v60
	s_delay_alu instid0(VALU_DEP_1) | instskip(NEXT) | instid1(VALU_DEP_1)
	v_sub_nc_u32_e32 v9, v58, v9
	v_sub_nc_u32_e32 v9, v9, v10
	s_delay_alu instid0(VALU_DEP_1) | instskip(NEXT) | instid1(VALU_DEP_1)
	v_ashrrev_i32_e32 v10, 31, v9
	v_lshrrev_b32_e32 v10, 27, v10
	s_delay_alu instid0(VALU_DEP_1) | instskip(NEXT) | instid1(VALU_DEP_1)
	v_add_nc_u32_e32 v10, v9, v10
	v_and_b32_e32 v11, 0x3fffffe0, v10
	s_delay_alu instid0(VALU_DEP_1) | instskip(NEXT) | instid1(VALU_DEP_1)
	v_dual_lshlrev_b32 v10, 2, v10 :: v_dual_sub_nc_u32 v9, v9, v11
	v_and_b32_e32 v10, 0xffffff80, v10
	s_delay_alu instid0(VALU_DEP_2) | instskip(NEXT) | instid1(VALU_DEP_1)
	v_lshlrev_b32_e32 v9, 2, v9
	v_add3_u32 v8, v10, v9, v8
	s_delay_alu instid0(VALU_DEP_1) | instskip(NEXT) | instid1(VALU_DEP_1)
	v_sub_nc_u32_e32 v14, v41, v8
	v_cmp_lt_i32_e32 vcc_lo, 3, v14
	s_and_b32 exec_lo, exec_lo, vcc_lo
	s_cbranch_execz .LBB6_630
; %bb.628:                              ;   in Loop: Header=BB6_495 Depth=2
	s_cvt_f32_u32 s13, s75
	s_trap 2
	ds_load_b64 v[10:11], v0
	s_sub_co_i32 s14, 0, s75
	v_rcp_iflag_f32_e32 v9, s13
	v_add_nc_u32_e32 v12, v8, v3
	s_delay_alu instid0(VALU_DEP_1) | instskip(NEXT) | instid1(TRANS32_DEP_1)
	v_ashrrev_i32_e32 v13, 31, v12
	v_readfirstlane_b32 s13, v9
	s_delay_alu instid0(VALU_DEP_2) | instskip(SKIP_1) | instid1(SALU_CYCLE_3)
	v_add_nc_u64_e32 v[8:9], v[12:13], v[46:47]
	s_mul_f32 s13, s13, 0x4f7ffffe
	s_cvt_u32_f32 s13, s13
	s_wait_dscnt 0x0
	v_add_nc_u64_e32 v[10:11], v[10:11], v[12:13]
	v_add_nc_u64_e32 v[12:13], v[12:13], v[4:5]
	s_mul_i32 s14, s14, s13
	s_delay_alu instid0(SALU_CYCLE_1) | instskip(NEXT) | instid1(SALU_CYCLE_1)
	s_mul_hi_u32 s14, s13, s14
	s_add_co_i32 s13, s13, s14
	s_delay_alu instid0(SALU_CYCLE_1) | instskip(NEXT) | instid1(SALU_CYCLE_1)
	s_mul_hi_u32 s13, s13, -1
	s_mul_i32 s14, s13, s75
	s_add_co_i32 s15, s13, 1
	s_not_b32 s14, s14
	s_delay_alu instid0(SALU_CYCLE_1)
	s_sub_co_i32 s16, s14, s75
	s_cmp_ge_u32 s14, s75
	s_cselect_b32 s13, s15, s13
	s_cselect_b32 s14, s16, s14
	s_add_co_i32 s15, s13, 1
	s_cmp_ge_u32 s14, s75
	s_mov_b32 s14, 0
	s_cselect_b32 s24, s15, s13
.LBB6_629:                              ;   Parent Loop BB6_47 Depth=1
                                        ;     Parent Loop BB6_495 Depth=2
                                        ; =>    This Inner Loop Header: Depth=3
	flat_load_b32 v3, v[8:9] th:TH_LOAD_NT
	flat_load_b32 v4, v[10:11] th:TH_LOAD_NT
	v_mov_b32_e32 v5, v2
	s_wait_xcnt 0x1
	v_add_nc_u64_e32 v[8:9], v[8:9], v[68:69]
	s_wait_xcnt 0x0
	v_add_nc_u64_e32 v[10:11], v[10:11], v[68:69]
	s_wait_loadcnt_dscnt 0x0
	v_dual_sub_nc_u32 v14, v14, v68 :: v_dual_add_nc_u32 v3, v4, v3
	s_delay_alu instid0(VALU_DEP_1) | instskip(NEXT) | instid1(VALU_DEP_1)
	v_dual_sub_nc_u32 v15, 0, v3 :: v_dual_bitop2_b32 v4, v3, v74 bitop3:0x40
	v_cmp_lt_i32_e32 vcc_lo, -1, v4
	s_delay_alu instid0(VALU_DEP_2) | instskip(NEXT) | instid1(VALU_DEP_1)
	v_cndmask_b32_e32 v4, v15, v3, vcc_lo
	v_mul_u64_e32 v[16:17], s[24:25], v[4:5]
	s_delay_alu instid0(VALU_DEP_1) | instskip(NEXT) | instid1(VALU_DEP_1)
	v_mul_lo_u32 v3, s75, v17
	v_sub_nc_u32_e32 v3, v4, v3
	s_delay_alu instid0(VALU_DEP_1) | instskip(NEXT) | instid1(VALU_DEP_1)
	v_cmp_le_u32_e64 s13, s75, v3
	v_add_co_ci_u32_e64 v3, null, 0, v17, s13
	s_delay_alu instid0(VALU_DEP_1) | instskip(NEXT) | instid1(VALU_DEP_1)
	v_sub_nc_u32_e32 v4, 0, v3
	v_cndmask_b32_e32 v3, v4, v3, vcc_lo
	v_cmp_gt_i32_e32 vcc_lo, 4, v14
	flat_store_b32 v[12:13], v3 th:TH_STORE_NT
	s_wait_xcnt 0x0
	v_add_nc_u64_e32 v[12:13], v[12:13], v[68:69]
	s_or_b32 s14, vcc_lo, s14
	s_delay_alu instid0(SALU_CYCLE_1)
	s_and_not1_b32 exec_lo, exec_lo, s14
	s_cbranch_execnz .LBB6_629
.LBB6_630:                              ;   in Loop: Header=BB6_495 Depth=2
	s_or_b32 exec_lo, exec_lo, s76
	v_cmp_lt_i32_e64 s13, 0, v119
	s_and_saveexec_b32 s14, s2
	s_cbranch_execz .LBB6_584
.LBB6_631:                              ;   in Loop: Header=BB6_495 Depth=2
	s_and_saveexec_b32 s15, s3
	s_delay_alu instid0(SALU_CYCLE_1)
	s_xor_b32 s15, exec_lo, s15
	s_cbranch_execz .LBB6_646
; %bb.632:                              ;   in Loop: Header=BB6_495 Depth=2
	s_and_saveexec_b32 s16, s6
	s_cbranch_execz .LBB6_645
; %bb.633:                              ;   in Loop: Header=BB6_495 Depth=2
	s_mov_b32 s18, exec_lo
	s_mov_b32 s17, exec_lo
	v_mbcnt_lo_u32_b32 v3, s18, 0
	global_wb scope:SCOPE_DEV
	s_wait_storecnt 0x0
	s_wait_loadcnt_dscnt 0x0
	global_inv scope:SCOPE_DEV
	v_cmpx_eq_u32_e32 0, v3
	s_cbranch_execz .LBB6_635
; %bb.634:                              ;   in Loop: Header=BB6_495 Depth=2
	s_bcnt1_i32_b32 s18, s18
	s_delay_alu instid0(SALU_CYCLE_1)
	v_dual_mov_b32 v5, v2 :: v_dual_mov_b32 v4, s18
	s_wait_loadcnt 0x0
	ds_add_u64 v0, v[4:5]
	s_trap 2
.LBB6_635:                              ;   in Loop: Header=BB6_495 Depth=2
	s_or_b32 exec_lo, exec_lo, s17
	s_trap 2
	ds_load_b64 v[4:5], v0
	s_wait_dscnt 0x0
	v_add_nc_u64_e32 v[36:37], v[36:37], v[48:49]
	s_mov_b32 s17, exec_lo
	s_delay_alu instid0(VALU_DEP_1)
	v_cmpx_lt_u64_e64 v[4:5], v[36:37]
	s_cbranch_execz .LBB6_644
; %bb.636:                              ;   in Loop: Header=BB6_495 Depth=2
	s_mov_b32 s18, 0
	s_mov_b32 s21, 0
                                        ; implicit-def: $sgpr19
                                        ; implicit-def: $sgpr20
	s_branch .LBB6_638
.LBB6_637:                              ;   in Loop: Header=BB6_638 Depth=3
	s_or_b32 exec_lo, exec_lo, s75
	s_delay_alu instid0(SALU_CYCLE_1) | instskip(NEXT) | instid1(SALU_CYCLE_1)
	s_and_b32 s24, exec_lo, s76
	s_or_b32 s18, s24, s18
	s_and_not1_b32 s19, s19, exec_lo
	s_and_b32 s24, s20, exec_lo
	s_delay_alu instid0(SALU_CYCLE_1)
	s_or_b32 s19, s19, s24
	s_and_not1_b32 exec_lo, exec_lo, s18
	s_cbranch_execz .LBB6_642
.LBB6_638:                              ;   Parent Loop BB6_47 Depth=1
                                        ;     Parent Loop BB6_495 Depth=2
                                        ; =>    This Inner Loop Header: Depth=3
	s_add_co_i32 s21, s21, 1
	s_delay_alu instid0(SALU_CYCLE_1) | instskip(SKIP_1) | instid1(SALU_CYCLE_1)
	s_cmp_lg_u32 s21, 0x2710
	s_cselect_b32 s24, -1, 0
	s_and_b32 vcc_lo, exec_lo, s24
	s_cbranch_vccz .LBB6_640
; %bb.639:                              ;   in Loop: Header=BB6_638 Depth=3
	s_mov_b32 s76, -1
	s_or_b32 s20, s20, exec_lo
	s_and_saveexec_b32 s75, s24
	s_cbranch_execz .LBB6_637
	s_branch .LBB6_641
.LBB6_640:                              ;   in Loop: Header=BB6_638 Depth=3
	s_trap 2
	ds_load_b64 v[4:5], v0
	s_and_not1_b32 s24, s24, exec_lo
	s_mov_b32 s21, 0
	s_wait_loadcnt_dscnt 0x0
	flat_load_b32 v3, v[4:5] scope:SCOPE_SYS
	s_wait_loadcnt_dscnt 0x0
	global_inv scope:SCOPE_SYS
	v_cmp_eq_u32_e32 vcc_lo, 0, v3
	s_and_b32 s75, vcc_lo, exec_lo
	s_delay_alu instid0(SALU_CYCLE_1)
	s_or_b32 s24, s24, s75
	s_mov_b32 s76, -1
	s_or_b32 s20, s20, exec_lo
	s_and_saveexec_b32 s75, s24
	s_cbranch_execz .LBB6_637
.LBB6_641:                              ;   in Loop: Header=BB6_638 Depth=3
	s_sleep 1
	s_trap 2
	ds_load_b64 v[4:5], v0
	s_wait_dscnt 0x0
	s_and_not1_b32 s20, s20, exec_lo
	v_cmp_ge_u64_e32 vcc_lo, v[4:5], v[36:37]
	s_or_not1_b32 s76, vcc_lo, exec_lo
	s_branch .LBB6_637
.LBB6_642:                              ;   in Loop: Header=BB6_495 Depth=2
	s_or_b32 exec_lo, exec_lo, s18
	s_and_saveexec_b32 s18, s19
	s_delay_alu instid0(SALU_CYCLE_1)
	s_xor_b32 s18, exec_lo, s18
	s_cbranch_execz .LBB6_644
; %bb.643:                              ;   in Loop: Header=BB6_495 Depth=2
	ds_store_b32 v0, v89
	s_trap 2
.LBB6_644:                              ;   in Loop: Header=BB6_495 Depth=2
	s_or_b32 exec_lo, exec_lo, s17
	;;#ASMSTART
	s_wakeup
	;;#ASMEND
.LBB6_645:                              ;   in Loop: Header=BB6_495 Depth=2
	s_or_b32 exec_lo, exec_lo, s16
.LBB6_646:                              ;   in Loop: Header=BB6_495 Depth=2
	s_and_not1_saveexec_b32 s15, s15
	s_cbranch_execz .LBB6_648
; %bb.647:                              ;   in Loop: Header=BB6_495 Depth=2
	global_wb scope:SCOPE_DEV
	s_wait_storecnt 0x0
	s_wait_loadcnt_dscnt 0x0
	global_inv scope:SCOPE_DEV
	s_barrier_signal -1
	s_barrier_wait -1
.LBB6_648:                              ;   in Loop: Header=BB6_495 Depth=2
	s_or_b32 exec_lo, exec_lo, s15
	s_delay_alu instid0(SALU_CYCLE_1) | instskip(SKIP_1) | instid1(SALU_CYCLE_1)
	s_or_b32 exec_lo, exec_lo, s14
                                        ; implicit-def: $vgpr3
	s_and_saveexec_b32 s14, s12
	s_xor_b32 s14, exec_lo, s14
	s_cbranch_execnz .LBB6_585
.LBB6_649:                              ;   in Loop: Header=BB6_495 Depth=2
	s_and_not1_saveexec_b32 s13, s14
	s_cbranch_execz .LBB6_668
.LBB6_650:                              ;   in Loop: Header=BB6_495 Depth=2
	s_and_saveexec_b32 s14, s3
	s_delay_alu instid0(SALU_CYCLE_1)
	s_xor_b32 s14, exec_lo, s14
	s_cbranch_execz .LBB6_665
; %bb.651:                              ;   in Loop: Header=BB6_495 Depth=2
	s_and_saveexec_b32 s15, s6
	s_cbranch_execz .LBB6_664
; %bb.652:                              ;   in Loop: Header=BB6_495 Depth=2
	s_mov_b32 s17, exec_lo
	s_mov_b32 s16, exec_lo
	v_mbcnt_lo_u32_b32 v3, s17, 0
	;;#ASMSTART
	s_waitcnt lgkmcnt(0) vmcnt(0)
	;;#ASMEND
	s_delay_alu instid0(VALU_DEP_1)
	v_cmpx_eq_u32_e32 0, v3
	s_cbranch_execz .LBB6_654
; %bb.653:                              ;   in Loop: Header=BB6_495 Depth=2
	s_bcnt1_i32_b32 s17, s17
	s_delay_alu instid0(SALU_CYCLE_1)
	v_dual_mov_b32 v5, v2 :: v_dual_mov_b32 v4, s17
	s_wait_storecnt 0x0
	s_wait_loadcnt_dscnt 0x0
	ds_add_u64 v0, v[4:5]
	s_trap 2
.LBB6_654:                              ;   in Loop: Header=BB6_495 Depth=2
	s_or_b32 exec_lo, exec_lo, s16
	s_trap 2
	ds_load_b64 v[4:5], v0
	s_wait_dscnt 0x0
	v_add_nc_u64_e32 v[36:37], v[36:37], v[48:49]
	s_mov_b32 s16, exec_lo
	s_delay_alu instid0(VALU_DEP_1)
	v_cmpx_lt_u64_e64 v[4:5], v[36:37]
	s_cbranch_execz .LBB6_663
; %bb.655:                              ;   in Loop: Header=BB6_495 Depth=2
	s_mov_b32 s17, 0
	s_mov_b32 s20, 0
                                        ; implicit-def: $sgpr18
                                        ; implicit-def: $sgpr19
	s_branch .LBB6_657
.LBB6_656:                              ;   in Loop: Header=BB6_657 Depth=3
	s_or_b32 exec_lo, exec_lo, s24
	s_delay_alu instid0(SALU_CYCLE_1) | instskip(NEXT) | instid1(SALU_CYCLE_1)
	s_and_b32 s21, exec_lo, s75
	s_or_b32 s17, s21, s17
	s_and_not1_b32 s18, s18, exec_lo
	s_and_b32 s21, s19, exec_lo
	s_delay_alu instid0(SALU_CYCLE_1)
	s_or_b32 s18, s18, s21
	s_and_not1_b32 exec_lo, exec_lo, s17
	s_cbranch_execz .LBB6_661
.LBB6_657:                              ;   Parent Loop BB6_47 Depth=1
                                        ;     Parent Loop BB6_495 Depth=2
                                        ; =>    This Inner Loop Header: Depth=3
	s_add_co_i32 s20, s20, 1
	s_delay_alu instid0(SALU_CYCLE_1) | instskip(SKIP_1) | instid1(SALU_CYCLE_1)
	s_cmp_lg_u32 s20, 0x2710
	s_cselect_b32 s21, -1, 0
	s_and_b32 vcc_lo, exec_lo, s21
	s_cbranch_vccz .LBB6_659
; %bb.658:                              ;   in Loop: Header=BB6_657 Depth=3
	s_mov_b32 s75, -1
	s_or_b32 s19, s19, exec_lo
	s_and_saveexec_b32 s24, s21
	s_cbranch_execz .LBB6_656
	s_branch .LBB6_660
.LBB6_659:                              ;   in Loop: Header=BB6_657 Depth=3
	s_trap 2
	ds_load_b64 v[4:5], v0
	s_and_not1_b32 s21, s21, exec_lo
	s_mov_b32 s20, 0
	s_wait_storecnt 0x0
	s_wait_loadcnt_dscnt 0x0
	flat_load_b32 v3, v[4:5] scope:SCOPE_SYS
	s_wait_loadcnt_dscnt 0x0
	global_inv scope:SCOPE_SYS
	v_cmp_eq_u32_e32 vcc_lo, 0, v3
	s_and_b32 s24, vcc_lo, exec_lo
	s_delay_alu instid0(SALU_CYCLE_1)
	s_or_b32 s21, s21, s24
	s_mov_b32 s75, -1
	s_or_b32 s19, s19, exec_lo
	s_and_saveexec_b32 s24, s21
	s_cbranch_execz .LBB6_656
.LBB6_660:                              ;   in Loop: Header=BB6_657 Depth=3
	s_sleep 1
	s_trap 2
	ds_load_b64 v[4:5], v0
	s_wait_dscnt 0x0
	s_and_not1_b32 s19, s19, exec_lo
	v_cmp_ge_u64_e32 vcc_lo, v[4:5], v[36:37]
	s_or_not1_b32 s75, vcc_lo, exec_lo
	s_branch .LBB6_656
.LBB6_661:                              ;   in Loop: Header=BB6_495 Depth=2
	s_or_b32 exec_lo, exec_lo, s17
	s_and_saveexec_b32 s17, s18
	s_delay_alu instid0(SALU_CYCLE_1)
	s_xor_b32 s17, exec_lo, s17
	s_cbranch_execz .LBB6_663
; %bb.662:                              ;   in Loop: Header=BB6_495 Depth=2
	ds_store_b32 v0, v89
	s_trap 2
.LBB6_663:                              ;   in Loop: Header=BB6_495 Depth=2
	s_or_b32 exec_lo, exec_lo, s16
	;;#ASMSTART
	s_wakeup
	;;#ASMEND
.LBB6_664:                              ;   in Loop: Header=BB6_495 Depth=2
	s_or_b32 exec_lo, exec_lo, s15
.LBB6_665:                              ;   in Loop: Header=BB6_495 Depth=2
	s_and_not1_saveexec_b32 s14, s14
	s_cbranch_execz .LBB6_667
; %bb.666:                              ;   in Loop: Header=BB6_495 Depth=2
	;;#ASMSTART
	s_waitcnt lgkmcnt(0) vmcnt(0)
	;;#ASMEND
	s_barrier_signal -1
	s_barrier_wait -1
.LBB6_667:                              ;   in Loop: Header=BB6_495 Depth=2
	s_or_b32 exec_lo, exec_lo, s14
	v_and_b32_e32 v3, 16, v30
.LBB6_668:                              ;   in Loop: Header=BB6_495 Depth=2
	s_or_b32 exec_lo, exec_lo, s13
	s_delay_alu instid0(VALU_DEP_1) | instskip(SKIP_1) | instid1(SALU_CYCLE_1)
	v_cmp_ne_u32_e32 vcc_lo, 0, v3
	s_xor_b32 s13, s4, -1
	s_and_b32 s14, vcc_lo, s13
	s_delay_alu instid0(SALU_CYCLE_1)
	s_and_saveexec_b32 s13, s14
	s_cbranch_execz .LBB6_670
; %bb.669:                              ;   in Loop: Header=BB6_495 Depth=2
	global_wb scope:SCOPE_SYS
	s_wait_storecnt 0x0
	s_wait_loadcnt_dscnt 0x0
	flat_store_b32 v[34:35], v89 scope:SCOPE_SYS
.LBB6_670:                              ;   in Loop: Header=BB6_495 Depth=2
	s_wait_xcnt 0x0
	s_or_b32 exec_lo, exec_lo, s13
	v_and_b32_e32 v3, 48, v30
	s_mov_b32 s13, exec_lo
	s_delay_alu instid0(VALU_DEP_1)
	v_cmpx_ne_u32_e32 0, v3
	s_cbranch_execz .LBB6_494
; %bb.671:                              ;   in Loop: Header=BB6_495 Depth=2
	v_add_nc_u64_e32 v[112:113], 2, v[112:113]
	global_wb scope:SCOPE_SYS
	s_wait_storecnt 0x0
	s_wait_loadcnt_dscnt 0x0
	flat_store_b64 v[26:27], v[112:113] scope:SCOPE_SYS
	s_branch .LBB6_494
.LBB6_672:                              ;   in Loop: Header=BB6_47 Depth=1
	s_or_b32 exec_lo, exec_lo, s72
.LBB6_673:                              ;   in Loop: Header=BB6_47 Depth=1
	s_delay_alu instid0(SALU_CYCLE_1) | instskip(NEXT) | instid1(SALU_CYCLE_1)
	s_or_b32 exec_lo, exec_lo, s43
	s_mov_b32 s14, exec_lo
	v_cmpx_gt_i32_e32 2, v3
	s_cbranch_execz .LBB6_749
; %bb.674:                              ;   in Loop: Header=BB6_47 Depth=1
	v_cmp_eq_u32_e64 s16, 0, v3
	s_mov_b32 s15, 0
	s_branch .LBB6_676
.LBB6_675:                              ;   in Loop: Header=BB6_676 Depth=2
	s_wait_xcnt 0x0
	s_or_b32 exec_lo, exec_lo, s13
	v_add_nc_u32_e32 v40, v118, v40
	s_mov_b32 s16, 0
	s_and_not1_b32 exec_lo, exec_lo, s15
	s_cbranch_execz .LBB6_748
.LBB6_676:                              ;   Parent Loop BB6_47 Depth=1
                                        ; =>  This Loop Header: Depth=2
                                        ;       Child Loop BB6_682 Depth 3
                                        ;       Child Loop BB6_710 Depth 3
                                        ;       Child Loop BB6_733 Depth 3
	s_delay_alu instid0(VALU_DEP_1) | instskip(SKIP_1) | instid1(VALU_DEP_1)
	v_dual_sub_nc_u32 v3, v92, v40 :: v_dual_bitop2_b32 v4, 12, v30 bitop3:0x40
	s_mov_b32 s17, exec_lo
	v_min_i32_e32 v118, v118, v3
	s_delay_alu instid0(VALU_DEP_2)
	v_cmpx_ne_u32_e32 0, v4
	s_cbranch_execz .LBB6_702
; %bb.677:                              ;   in Loop: Header=BB6_676 Depth=2
	v_dual_mov_b32 v11, v2 :: v_dual_bitop2_b32 v10, 8, v30 bitop3:0x40
	v_add_nc_u64_e32 v[8:9], 2, v[112:113]
	s_mov_b32 s18, exec_lo
	s_wait_loadcnt_dscnt 0x1
	s_delay_alu instid0(VALU_DEP_2) | instskip(NEXT) | instid1(VALU_DEP_1)
	v_add_nc_u64_e32 v[4:5], v[38:39], v[10:11]
	v_cmpx_lt_u64_e64 v[4:5], v[8:9]
	s_cbranch_execz .LBB6_689
; %bb.678:                              ;   in Loop: Header=BB6_676 Depth=2
	v_and_b32_e32 v3, 64, v30
	s_mov_b32 s19, 0
	s_mov_b32 s43, 0
                                        ; implicit-def: $sgpr20
                                        ; implicit-def: $sgpr21
                                        ; implicit-def: $sgpr24
	s_delay_alu instid0(VALU_DEP_1)
	v_cmp_eq_u32_e32 vcc_lo, 0, v3
	s_branch .LBB6_682
.LBB6_679:                              ;   in Loop: Header=BB6_682 Depth=3
	s_wait_loadcnt_dscnt 0x0
	v_add_nc_u64_e32 v[4:5], v[38:39], v[10:11]
	s_or_b32 s74, s74, exec_lo
	s_delay_alu instid0(VALU_DEP_1)
	v_cmp_ge_u64_e64 s13, v[4:5], v[8:9]
	s_or_not1_b32 s73, s13, exec_lo
.LBB6_680:                              ;   in Loop: Header=BB6_682 Depth=3
	s_or_b32 exec_lo, exec_lo, s76
	s_delay_alu instid0(SALU_CYCLE_1)
	s_and_not1_b32 s13, s24, exec_lo
	s_and_b32 s24, s74, exec_lo
	s_and_not1_b32 s21, s21, exec_lo
	s_and_b32 s73, s73, exec_lo
	s_or_b32 s24, s13, s24
	s_or_b32 s21, s21, s73
.LBB6_681:                              ;   in Loop: Header=BB6_682 Depth=3
	s_or_b32 exec_lo, exec_lo, s72
	s_delay_alu instid0(SALU_CYCLE_1) | instskip(NEXT) | instid1(SALU_CYCLE_1)
	s_and_b32 s13, exec_lo, s21
	s_or_b32 s19, s13, s19
	s_and_not1_b32 s13, s20, exec_lo
	s_and_b32 s20, s24, exec_lo
	s_delay_alu instid0(SALU_CYCLE_1)
	s_or_b32 s20, s13, s20
	s_and_not1_b32 exec_lo, exec_lo, s19
	s_cbranch_execz .LBB6_686
.LBB6_682:                              ;   Parent Loop BB6_47 Depth=1
                                        ;     Parent Loop BB6_676 Depth=2
                                        ; =>    This Inner Loop Header: Depth=3
	s_sleep 1
	s_wait_loadcnt_dscnt 0x0
	flat_load_b64 v[38:39], v[26:27] scope:SCOPE_SYS
	s_or_b32 s24, s24, exec_lo
	s_or_b32 s21, s21, exec_lo
                                        ; implicit-def: $vgpr3
	s_wait_xcnt 0x0
	s_and_saveexec_b32 s72, vcc_lo
	s_cbranch_execz .LBB6_681
; %bb.683:                              ;   in Loop: Header=BB6_682 Depth=3
	s_cmp_lt_i32 s43, 0x270f
	s_mov_b32 s73, -1
	s_cselect_b32 s75, -1, 0
	s_cmp_gt_i32 s43, 0x270e
	s_cbranch_scc0 .LBB6_685
; %bb.684:                              ;   in Loop: Header=BB6_682 Depth=3
	s_trap 2
	ds_load_b64 v[4:5], v0
	s_and_not1_b32 s43, s75, exec_lo
	s_mov_b32 s74, 0
	s_wait_storecnt 0x0
	s_wait_loadcnt_dscnt 0x0
	flat_load_b32 v3, v[4:5] scope:SCOPE_SYS
	s_wait_loadcnt_dscnt 0x0
	global_inv scope:SCOPE_SYS
	v_cmp_eq_u32_e64 s13, 0, v3
	s_and_b32 s13, s13, exec_lo
	s_delay_alu instid0(SALU_CYCLE_1)
	s_or_b32 s75, s43, s13
	s_mov_b32 s43, 0
	s_and_saveexec_b32 s76, s75
	s_cbranch_execz .LBB6_680
	s_branch .LBB6_679
.LBB6_685:                              ;   in Loop: Header=BB6_682 Depth=3
	s_add_co_i32 s43, s43, 1
	s_mov_b32 s74, -1
                                        ; implicit-def: $vgpr3
	s_and_saveexec_b32 s76, s75
	s_cbranch_execz .LBB6_680
	s_branch .LBB6_679
.LBB6_686:                              ;   in Loop: Header=BB6_676 Depth=2
	s_or_b32 exec_lo, exec_lo, s19
	s_xor_b32 s13, s20, -1
	s_delay_alu instid0(SALU_CYCLE_1) | instskip(NEXT) | instid1(SALU_CYCLE_1)
	s_and_saveexec_b32 s19, s13
	s_xor_b32 s13, exec_lo, s19
	s_cbranch_execz .LBB6_688
; %bb.687:                              ;   in Loop: Header=BB6_676 Depth=2
	v_or_b32_e32 v30, 64, v30
	s_wait_storecnt 0x0
	s_wait_loadcnt_dscnt 0x0
	ds_store_b32 v0, v3
	s_trap 2
.LBB6_688:                              ;   in Loop: Header=BB6_676 Depth=2
	s_or_b32 exec_lo, exec_lo, s13
.LBB6_689:                              ;   in Loop: Header=BB6_676 Depth=2
	s_delay_alu instid0(SALU_CYCLE_1) | instskip(SKIP_3) | instid1(VALU_DEP_1)
	s_or_b32 exec_lo, exec_lo, s18
	v_and_b32_e32 v3, 0x108, v30
	s_mov_b32 s13, exec_lo
	;;#ASMSTART
	s_wakeup
	;;#ASMEND
                                        ; implicit-def: $vgpr12_vgpr13
	v_cmpx_ne_u32_e32 0x108, v3
	s_xor_b32 s13, exec_lo, s13
; %bb.690:                              ;   in Loop: Header=BB6_676 Depth=2
	v_dual_mov_b32 v13, v2 :: v_dual_bitop2_b32 v12, 7, v112 bitop3:0x40
                                        ; implicit-def: $vgpr112_vgpr113
; %bb.691:                              ;   in Loop: Header=BB6_676 Depth=2
	s_and_not1_saveexec_b32 s13, s13
	s_cbranch_execz .LBB6_693
; %bb.692:                              ;   in Loop: Header=BB6_676 Depth=2
	v_dual_ashrrev_i32 v119, 31, v118 :: v_dual_bitop2_b32 v12, 7, v112 bitop3:0x40
	v_mov_b32_e32 v13, v2
	s_delay_alu instid0(VALU_DEP_2) | instskip(NEXT) | instid1(VALU_DEP_3)
	v_mad_nc_u64_u32 v[4:5], v12, 24, v[6:7]
	v_lshlrev_b64_e32 v[14:15], 2, v[118:119]
	flat_store_b64 v[4:5], v[14:15] offset:8
.LBB6_693:                              ;   in Loop: Header=BB6_676 Depth=2
	s_wait_xcnt 0x0
	s_or_b32 exec_lo, exec_lo, s13
	v_and_b32_e32 v3, 0x100, v30
	s_mov_b32 s13, -1
	s_mov_b32 s18, exec_lo
                                        ; implicit-def: $vgpr14_vgpr15
	s_delay_alu instid0(VALU_DEP_1)
	v_cmpx_ne_u32_e32 0, v3
	s_cbranch_execz .LBB6_697
; %bb.694:                              ;   in Loop: Header=BB6_676 Depth=2
	v_mad_nc_u64_u32 v[16:17], v12, 24, v[6:7]
	s_mov_b32 s19, exec_lo
                                        ; implicit-def: $vgpr14_vgpr15
	s_delay_alu instid0(VALU_DEP_1)
	v_mad_u32 v17, v13, 24, v17
	flat_load_b32 v3, v[16:17]
	s_wait_loadcnt_dscnt 0x0
	v_cmp_ne_u32_e32 vcc_lo, 1, v3
	s_wait_xcnt 0x0
	v_cmpx_eq_u32_e32 1, v3
	s_cbranch_execz .LBB6_696
; %bb.695:                              ;   in Loop: Header=BB6_676 Depth=2
	flat_load_b32 v4, v[16:17] offset:4 scope:SCOPE_SYS
	s_wait_loadcnt_dscnt 0x0
	v_ashrrev_i32_e32 v5, 31, v4
	s_delay_alu instid0(VALU_DEP_1)
	v_lshrrev_b64 v[14:15], 2, v[4:5]
.LBB6_696:                              ;   in Loop: Header=BB6_676 Depth=2
	s_wait_xcnt 0x0
	s_or_b32 exec_lo, exec_lo, s19
	s_delay_alu instid0(SALU_CYCLE_1)
	s_or_not1_b32 s13, vcc_lo, exec_lo
.LBB6_697:                              ;   in Loop: Header=BB6_676 Depth=2
	s_or_b32 exec_lo, exec_lo, s18
	s_and_saveexec_b32 s18, s13
; %bb.698:                              ;   in Loop: Header=BB6_676 Depth=2
	v_mul_u64_e32 v[14:15], v[12:13], v[28:29]
; %bb.699:                              ;   in Loop: Header=BB6_676 Depth=2
	s_or_b32 exec_lo, exec_lo, s18
	v_cmp_eq_u32_e32 vcc_lo, 0, v10
	v_and_b32_e32 v10, 0x2000, v30
	s_delay_alu instid0(VALU_DEP_3) | instskip(SKIP_2) | instid1(VALU_DEP_1)
	v_lshl_add_u64 v[4:5], v[14:15], 2, v[32:33]
	s_mov_b32 s13, exec_lo
	v_cndmask_b32_e32 v3, 0xd0, v90, vcc_lo
	v_add_nc_u32_e32 v3, v0, v3
	ds_store_b64 v3, v[4:5] offset:584
	v_cmpx_ne_u32_e32 0, v10
	s_cbranch_execz .LBB6_701
; %bb.700:                              ;   in Loop: Header=BB6_676 Depth=2
	ds_load_b64 v[4:5], v0 offset:872
	s_wait_dscnt 0x0
	v_add_nc_u64_e32 v[4:5], 1, v[4:5]
	ds_store_b64 v0, v[4:5] offset:872
.LBB6_701:                              ;   in Loop: Header=BB6_676 Depth=2
	s_or_b32 exec_lo, exec_lo, s13
	v_mov_b64_e32 v[112:113], v[8:9]
.LBB6_702:                              ;   in Loop: Header=BB6_676 Depth=2
	s_or_b32 exec_lo, exec_lo, s17
	s_xor_b32 s13, s16, -1
	s_delay_alu instid0(SALU_CYCLE_1) | instskip(NEXT) | instid1(SALU_CYCLE_1)
	s_and_b32 s13, exec_lo, s13
	s_or_b32 s15, s13, s15
	s_and_saveexec_b32 s13, s2
	s_cbranch_execz .LBB6_721
; %bb.703:                              ;   in Loop: Header=BB6_676 Depth=2
	s_and_saveexec_b32 s16, s3
	s_delay_alu instid0(SALU_CYCLE_1)
	s_xor_b32 s16, exec_lo, s16
	s_cbranch_execz .LBB6_718
; %bb.704:                              ;   in Loop: Header=BB6_676 Depth=2
	s_and_saveexec_b32 s17, s6
	s_cbranch_execz .LBB6_717
; %bb.705:                              ;   in Loop: Header=BB6_676 Depth=2
	s_mov_b32 s19, exec_lo
	s_mov_b32 s18, exec_lo
	v_mbcnt_lo_u32_b32 v3, s19, 0
	global_wb scope:SCOPE_DEV
	s_wait_storecnt 0x0
	s_wait_loadcnt_dscnt 0x0
	global_inv scope:SCOPE_DEV
	v_cmpx_eq_u32_e32 0, v3
	s_cbranch_execz .LBB6_707
; %bb.706:                              ;   in Loop: Header=BB6_676 Depth=2
	s_bcnt1_i32_b32 s19, s19
	s_delay_alu instid0(SALU_CYCLE_1)
	v_dual_mov_b32 v5, v2 :: v_dual_mov_b32 v4, s19
	s_wait_loadcnt 0x0
	ds_add_u64 v0, v[4:5]
	s_trap 2
.LBB6_707:                              ;   in Loop: Header=BB6_676 Depth=2
	s_or_b32 exec_lo, exec_lo, s18
	s_trap 2
	ds_load_b64 v[4:5], v0
	s_wait_dscnt 0x0
	v_add_nc_u64_e32 v[36:37], v[36:37], v[48:49]
	s_mov_b32 s18, exec_lo
	s_delay_alu instid0(VALU_DEP_1)
	v_cmpx_lt_u64_e64 v[4:5], v[36:37]
	s_cbranch_execz .LBB6_716
; %bb.708:                              ;   in Loop: Header=BB6_676 Depth=2
	s_mov_b32 s19, 0
	s_mov_b32 s24, 0
                                        ; implicit-def: $sgpr20
                                        ; implicit-def: $sgpr21
	s_branch .LBB6_710
.LBB6_709:                              ;   in Loop: Header=BB6_710 Depth=3
	s_or_b32 exec_lo, exec_lo, s72
	s_delay_alu instid0(SALU_CYCLE_1) | instskip(NEXT) | instid1(SALU_CYCLE_1)
	s_and_b32 s43, exec_lo, s73
	s_or_b32 s19, s43, s19
	s_and_not1_b32 s20, s20, exec_lo
	s_and_b32 s43, s21, exec_lo
	s_delay_alu instid0(SALU_CYCLE_1)
	s_or_b32 s20, s20, s43
	s_and_not1_b32 exec_lo, exec_lo, s19
	s_cbranch_execz .LBB6_714
.LBB6_710:                              ;   Parent Loop BB6_47 Depth=1
                                        ;     Parent Loop BB6_676 Depth=2
                                        ; =>    This Inner Loop Header: Depth=3
	s_add_co_i32 s24, s24, 1
	s_delay_alu instid0(SALU_CYCLE_1) | instskip(SKIP_1) | instid1(SALU_CYCLE_1)
	s_cmp_lg_u32 s24, 0x2710
	s_cselect_b32 s43, -1, 0
	s_and_b32 vcc_lo, exec_lo, s43
	s_cbranch_vccz .LBB6_712
; %bb.711:                              ;   in Loop: Header=BB6_710 Depth=3
	s_mov_b32 s73, -1
	s_or_b32 s21, s21, exec_lo
	s_and_saveexec_b32 s72, s43
	s_cbranch_execz .LBB6_709
	s_branch .LBB6_713
.LBB6_712:                              ;   in Loop: Header=BB6_710 Depth=3
	s_trap 2
	ds_load_b64 v[4:5], v0
	s_and_not1_b32 s43, s43, exec_lo
	s_mov_b32 s24, 0
	s_wait_loadcnt_dscnt 0x0
	flat_load_b32 v3, v[4:5] scope:SCOPE_SYS
	s_wait_loadcnt_dscnt 0x0
	global_inv scope:SCOPE_SYS
	v_cmp_eq_u32_e32 vcc_lo, 0, v3
	s_and_b32 s72, vcc_lo, exec_lo
	s_delay_alu instid0(SALU_CYCLE_1)
	s_or_b32 s43, s43, s72
	s_mov_b32 s73, -1
	s_or_b32 s21, s21, exec_lo
	s_and_saveexec_b32 s72, s43
	s_cbranch_execz .LBB6_709
.LBB6_713:                              ;   in Loop: Header=BB6_710 Depth=3
	s_sleep 1
	s_trap 2
	ds_load_b64 v[4:5], v0
	s_wait_dscnt 0x0
	s_and_not1_b32 s21, s21, exec_lo
	v_cmp_ge_u64_e32 vcc_lo, v[4:5], v[36:37]
	s_or_not1_b32 s73, vcc_lo, exec_lo
	s_branch .LBB6_709
.LBB6_714:                              ;   in Loop: Header=BB6_676 Depth=2
	s_or_b32 exec_lo, exec_lo, s19
	s_and_saveexec_b32 s19, s20
	s_delay_alu instid0(SALU_CYCLE_1)
	s_xor_b32 s19, exec_lo, s19
	s_cbranch_execz .LBB6_716
; %bb.715:                              ;   in Loop: Header=BB6_676 Depth=2
	ds_store_b32 v0, v89
	s_trap 2
.LBB6_716:                              ;   in Loop: Header=BB6_676 Depth=2
	s_or_b32 exec_lo, exec_lo, s18
	;;#ASMSTART
	s_wakeup
	;;#ASMEND
.LBB6_717:                              ;   in Loop: Header=BB6_676 Depth=2
	s_or_b32 exec_lo, exec_lo, s17
.LBB6_718:                              ;   in Loop: Header=BB6_676 Depth=2
	s_and_not1_saveexec_b32 s16, s16
	s_cbranch_execz .LBB6_720
; %bb.719:                              ;   in Loop: Header=BB6_676 Depth=2
	global_wb scope:SCOPE_DEV
	s_wait_storecnt 0x0
	s_wait_loadcnt_dscnt 0x0
	global_inv scope:SCOPE_DEV
	s_barrier_signal -1
	s_barrier_wait -1
.LBB6_720:                              ;   in Loop: Header=BB6_676 Depth=2
	s_or_b32 exec_lo, exec_lo, s16
.LBB6_721:                              ;   in Loop: Header=BB6_676 Depth=2
	s_delay_alu instid0(SALU_CYCLE_1) | instskip(SKIP_1) | instid1(SALU_CYCLE_1)
	s_or_b32 exec_lo, exec_lo, s13
                                        ; implicit-def: $vgpr3
	s_and_saveexec_b32 s13, s12
	s_xor_b32 s16, exec_lo, s13
	s_cbranch_execz .LBB6_725
; %bb.722:                              ;   in Loop: Header=BB6_676 Depth=2
	s_trap 2
	ds_load_b32 v3, v0
	v_cmp_lt_i32_e32 vcc_lo, 0, v118
	s_wait_dscnt 0x0
	v_readfirstlane_b32 s13, v3
	v_and_b32_e32 v3, 16, v30
	s_cmp_eq_u32 s13, 0
	s_delay_alu instid0(VALU_DEP_1) | instskip(SKIP_3) | instid1(SALU_CYCLE_1)
	v_cmp_ne_u32_e64 s13, 0, v3
	s_cselect_b32 s17, -1, 0
	v_and_b32_e32 v3, 16, v30
	s_and_b32 s17, vcc_lo, s17
	s_and_b32 s17, s13, s17
	s_delay_alu instid0(SALU_CYCLE_1)
	s_and_saveexec_b32 s13, s17
	s_cbranch_execz .LBB6_724
; %bb.723:                              ;   in Loop: Header=BB6_676 Depth=2
	v_mov_b32_e32 v3, 1
	global_wb scope:SCOPE_SYS
	s_wait_loadcnt 0x0
	s_wait_storecnt 0x0
	global_inv scope:SCOPE_SYS
.LBB6_724:                              ;   in Loop: Header=BB6_676 Depth=2
	s_or_b32 exec_lo, exec_lo, s13
	s_and_not1_saveexec_b32 s13, s16
	s_cbranch_execz .LBB6_744
	s_branch .LBB6_726
.LBB6_725:                              ;   in Loop: Header=BB6_676 Depth=2
	s_and_not1_saveexec_b32 s13, s16
	s_cbranch_execz .LBB6_744
.LBB6_726:                              ;   in Loop: Header=BB6_676 Depth=2
	s_and_saveexec_b32 s16, s3
	s_delay_alu instid0(SALU_CYCLE_1)
	s_xor_b32 s16, exec_lo, s16
	s_cbranch_execz .LBB6_741
; %bb.727:                              ;   in Loop: Header=BB6_676 Depth=2
	s_and_saveexec_b32 s17, s6
	s_cbranch_execz .LBB6_740
; %bb.728:                              ;   in Loop: Header=BB6_676 Depth=2
	s_mov_b32 s19, exec_lo
	s_mov_b32 s18, exec_lo
	v_mbcnt_lo_u32_b32 v3, s19, 0
	;;#ASMSTART
	s_waitcnt lgkmcnt(0) vmcnt(0)
	;;#ASMEND
	s_delay_alu instid0(VALU_DEP_1)
	v_cmpx_eq_u32_e32 0, v3
	s_cbranch_execz .LBB6_730
; %bb.729:                              ;   in Loop: Header=BB6_676 Depth=2
	s_bcnt1_i32_b32 s19, s19
	s_delay_alu instid0(SALU_CYCLE_1)
	v_dual_mov_b32 v5, v2 :: v_dual_mov_b32 v4, s19
	s_wait_storecnt 0x0
	s_wait_loadcnt_dscnt 0x0
	ds_add_u64 v0, v[4:5]
	s_trap 2
.LBB6_730:                              ;   in Loop: Header=BB6_676 Depth=2
	s_or_b32 exec_lo, exec_lo, s18
	s_trap 2
	ds_load_b64 v[4:5], v0
	s_wait_dscnt 0x0
	v_add_nc_u64_e32 v[36:37], v[36:37], v[48:49]
	s_mov_b32 s18, exec_lo
	s_delay_alu instid0(VALU_DEP_1)
	v_cmpx_lt_u64_e64 v[4:5], v[36:37]
	s_cbranch_execz .LBB6_739
; %bb.731:                              ;   in Loop: Header=BB6_676 Depth=2
	s_mov_b32 s19, 0
	s_mov_b32 s24, 0
                                        ; implicit-def: $sgpr20
                                        ; implicit-def: $sgpr21
	s_branch .LBB6_733
.LBB6_732:                              ;   in Loop: Header=BB6_733 Depth=3
	s_or_b32 exec_lo, exec_lo, s72
	s_delay_alu instid0(SALU_CYCLE_1) | instskip(NEXT) | instid1(SALU_CYCLE_1)
	s_and_b32 s43, exec_lo, s73
	s_or_b32 s19, s43, s19
	s_and_not1_b32 s20, s20, exec_lo
	s_and_b32 s43, s21, exec_lo
	s_delay_alu instid0(SALU_CYCLE_1)
	s_or_b32 s20, s20, s43
	s_and_not1_b32 exec_lo, exec_lo, s19
	s_cbranch_execz .LBB6_737
.LBB6_733:                              ;   Parent Loop BB6_47 Depth=1
                                        ;     Parent Loop BB6_676 Depth=2
                                        ; =>    This Inner Loop Header: Depth=3
	s_add_co_i32 s24, s24, 1
	s_delay_alu instid0(SALU_CYCLE_1) | instskip(SKIP_1) | instid1(SALU_CYCLE_1)
	s_cmp_lg_u32 s24, 0x2710
	s_cselect_b32 s43, -1, 0
	s_and_b32 vcc_lo, exec_lo, s43
	s_cbranch_vccz .LBB6_735
; %bb.734:                              ;   in Loop: Header=BB6_733 Depth=3
	s_mov_b32 s73, -1
	s_or_b32 s21, s21, exec_lo
	s_and_saveexec_b32 s72, s43
	s_cbranch_execz .LBB6_732
	s_branch .LBB6_736
.LBB6_735:                              ;   in Loop: Header=BB6_733 Depth=3
	s_trap 2
	ds_load_b64 v[4:5], v0
	s_and_not1_b32 s43, s43, exec_lo
	s_mov_b32 s24, 0
	s_wait_storecnt 0x0
	s_wait_loadcnt_dscnt 0x0
	flat_load_b32 v3, v[4:5] scope:SCOPE_SYS
	s_wait_loadcnt_dscnt 0x0
	global_inv scope:SCOPE_SYS
	v_cmp_eq_u32_e32 vcc_lo, 0, v3
	s_and_b32 s72, vcc_lo, exec_lo
	s_delay_alu instid0(SALU_CYCLE_1)
	s_or_b32 s43, s43, s72
	s_mov_b32 s73, -1
	s_or_b32 s21, s21, exec_lo
	s_and_saveexec_b32 s72, s43
	s_cbranch_execz .LBB6_732
.LBB6_736:                              ;   in Loop: Header=BB6_733 Depth=3
	s_sleep 1
	s_trap 2
	ds_load_b64 v[4:5], v0
	s_wait_dscnt 0x0
	s_and_not1_b32 s21, s21, exec_lo
	v_cmp_ge_u64_e32 vcc_lo, v[4:5], v[36:37]
	s_or_not1_b32 s73, vcc_lo, exec_lo
	s_branch .LBB6_732
.LBB6_737:                              ;   in Loop: Header=BB6_676 Depth=2
	s_or_b32 exec_lo, exec_lo, s19
	s_and_saveexec_b32 s19, s20
	s_delay_alu instid0(SALU_CYCLE_1)
	s_xor_b32 s19, exec_lo, s19
	s_cbranch_execz .LBB6_739
; %bb.738:                              ;   in Loop: Header=BB6_676 Depth=2
	ds_store_b32 v0, v89
	s_trap 2
.LBB6_739:                              ;   in Loop: Header=BB6_676 Depth=2
	s_or_b32 exec_lo, exec_lo, s18
	;;#ASMSTART
	s_wakeup
	;;#ASMEND
.LBB6_740:                              ;   in Loop: Header=BB6_676 Depth=2
	s_or_b32 exec_lo, exec_lo, s17
.LBB6_741:                              ;   in Loop: Header=BB6_676 Depth=2
	s_and_not1_saveexec_b32 s16, s16
	s_cbranch_execz .LBB6_743
; %bb.742:                              ;   in Loop: Header=BB6_676 Depth=2
	;;#ASMSTART
	s_waitcnt lgkmcnt(0) vmcnt(0)
	;;#ASMEND
	s_barrier_signal -1
	s_barrier_wait -1
.LBB6_743:                              ;   in Loop: Header=BB6_676 Depth=2
	s_or_b32 exec_lo, exec_lo, s16
	v_and_b32_e32 v3, 16, v30
.LBB6_744:                              ;   in Loop: Header=BB6_676 Depth=2
	s_or_b32 exec_lo, exec_lo, s13
	s_delay_alu instid0(VALU_DEP_1) | instskip(SKIP_1) | instid1(SALU_CYCLE_1)
	v_cmp_ne_u32_e32 vcc_lo, 0, v3
	s_xor_b32 s13, s4, -1
	s_and_b32 s16, vcc_lo, s13
	s_delay_alu instid0(SALU_CYCLE_1)
	s_and_saveexec_b32 s13, s16
	s_cbranch_execz .LBB6_746
; %bb.745:                              ;   in Loop: Header=BB6_676 Depth=2
	global_wb scope:SCOPE_SYS
	s_wait_storecnt 0x0
	s_wait_loadcnt_dscnt 0x0
	flat_store_b32 v[34:35], v89 scope:SCOPE_SYS
.LBB6_746:                              ;   in Loop: Header=BB6_676 Depth=2
	s_wait_xcnt 0x0
	s_or_b32 exec_lo, exec_lo, s13
	v_and_b32_e32 v3, 48, v30
	s_mov_b32 s13, exec_lo
	s_delay_alu instid0(VALU_DEP_1)
	v_cmpx_ne_u32_e32 0, v3
	s_cbranch_execz .LBB6_675
; %bb.747:                              ;   in Loop: Header=BB6_676 Depth=2
	v_add_nc_u64_e32 v[112:113], 2, v[112:113]
	global_wb scope:SCOPE_SYS
	s_wait_storecnt 0x0
	s_wait_loadcnt_dscnt 0x0
	flat_store_b64 v[26:27], v[112:113] scope:SCOPE_SYS
	s_branch .LBB6_675
.LBB6_748:                              ;   in Loop: Header=BB6_47 Depth=1
	s_or_b32 exec_lo, exec_lo, s15
.LBB6_749:                              ;   in Loop: Header=BB6_47 Depth=1
	s_delay_alu instid0(SALU_CYCLE_1) | instskip(NEXT) | instid1(SALU_CYCLE_1)
	s_or_b32 exec_lo, exec_lo, s14
	s_and_not1_b32 vcc_lo, exec_lo, s58
	s_cbranch_vccnz .LBB6_1006
; %bb.750:                              ;   in Loop: Header=BB6_47 Depth=1
	s_mov_b32 s18, 1
.LBB6_751:                              ;   Parent Loop BB6_47 Depth=1
                                        ; =>  This Loop Header: Depth=2
                                        ;       Child Loop BB6_754 Depth 3
                                        ;         Child Loop BB6_762 Depth 4
                                        ;         Child Loop BB6_790 Depth 4
	;; [unrolled: 1-line block ×5, first 2 shown]
                                        ;           Child Loop BB6_842 Depth 5
                                        ;         Child Loop BB6_849 Depth 4
                                        ;         Child Loop BB6_854 Depth 4
                                        ;           Child Loop BB6_855 Depth 5
                                        ;         Child Loop BB6_867 Depth 4
                                        ;         Child Loop BB6_872 Depth 4
	;; [unrolled: 1-line block ×6, first 2 shown]
                                        ;       Child Loop BB6_931 Depth 3
                                        ;         Child Loop BB6_937 Depth 4
                                        ;         Child Loop BB6_965 Depth 4
	;; [unrolled: 1-line block ×3, first 2 shown]
	s_delay_alu instid0(SALU_CYCLE_1)
	s_sub_co_i32 s13, s56, s18
	s_mov_b32 s20, 0
	s_cmp_ge_i32 s13, s22
	v_mov_b32_e32 v10, 0
	s_cselect_b32 s14, s22, 0
	v_mov_b32_e32 v14, 0
	s_sub_co_i32 s14, s13, s14
	s_delay_alu instid0(SALU_CYCLE_1) | instskip(NEXT) | instid1(SALU_CYCLE_1)
	s_ashr_i32 s15, s14, 31
	v_mul_u64_e32 v[8:9], s[14:15], v[102:103]
	s_delay_alu instid0(VALU_DEP_1) | instskip(NEXT) | instid1(VALU_DEP_1)
	v_sub_nc_u64_e32 v[4:5], v[114:115], v[8:9]
	v_min_i64 v[4:5], v[102:103], v[4:5]
	s_delay_alu instid0(VALU_DEP_1) | instskip(SKIP_1) | instid1(VALU_DEP_2)
	v_max_i32_e32 v3, 0, v4
	v_cmp_lt_i32_e32 vcc_lo, 0, v4
	v_add_nc_u32_e32 v5, 31, v3
	s_and_b32 s13, s61, vcc_lo
	s_delay_alu instid0(VALU_DEP_1) | instskip(NEXT) | instid1(VALU_DEP_1)
	v_lshrrev_b32_e32 v5, 1, v5
	v_and_b32_e32 v5, 0x3ffffff0, v5
	s_delay_alu instid0(VALU_DEP_1)
	v_max_i32_e32 v12, s57, v5
	s_and_saveexec_b32 s19, s13
	s_cbranch_execz .LBB6_928
; %bb.752:                              ;   in Loop: Header=BB6_751 Depth=2
	v_add_nc_u64_e32 v[4:5], v[8:9], v[116:117]
	v_mov_b32_e32 v14, 0
	s_mov_b32 s24, 1
	s_mov_b32 s21, -1
	s_delay_alu instid0(VALU_DEP_2)
	v_lshlrev_b64_e32 v[16:17], 2, v[4:5]
	s_branch .LBB6_754
.LBB6_753:                              ;   in Loop: Header=BB6_754 Depth=3
	s_wait_xcnt 0x0
	s_or_b32 exec_lo, exec_lo, s13
	v_dual_add_nc_u32 v14, v12, v14 :: v_dual_mov_b32 v10, s24
	s_xor_b32 s13, s21, -1
	s_mov_b32 s21, 0
	s_mov_b32 s24, 2
	s_delay_alu instid0(VALU_DEP_1) | instskip(SKIP_1) | instid1(SALU_CYCLE_1)
	v_cmp_ge_i32_e32 vcc_lo, v14, v3
	s_or_b32 s13, s13, vcc_lo
	s_and_b32 s13, exec_lo, s13
	s_delay_alu instid0(SALU_CYCLE_1) | instskip(NEXT) | instid1(SALU_CYCLE_1)
	s_or_b32 s20, s13, s20
	s_and_not1_b32 exec_lo, exec_lo, s20
	s_cbranch_execz .LBB6_927
.LBB6_754:                              ;   Parent Loop BB6_47 Depth=1
                                        ;     Parent Loop BB6_751 Depth=2
                                        ; =>    This Loop Header: Depth=3
                                        ;         Child Loop BB6_762 Depth 4
                                        ;         Child Loop BB6_790 Depth 4
	;; [unrolled: 1-line block ×5, first 2 shown]
                                        ;           Child Loop BB6_842 Depth 5
                                        ;         Child Loop BB6_849 Depth 4
                                        ;         Child Loop BB6_854 Depth 4
                                        ;           Child Loop BB6_855 Depth 5
                                        ;         Child Loop BB6_867 Depth 4
                                        ;         Child Loop BB6_872 Depth 4
	;; [unrolled: 1-line block ×6, first 2 shown]
	s_and_saveexec_b32 s13, s0
	s_cbranch_execz .LBB6_756
; %bb.755:                              ;   in Loop: Header=BB6_754 Depth=3
	s_trap 2
	ds_load_b128 v[8:11], v0
	s_wait_dscnt 0x0
	v_cmp_ne_u64_e32 vcc_lo, 0, v[10:11]
	v_ashrrev_i32_e32 v15, 31, v14
	v_add_nc_u64_e32 v[18:19], v[10:11], v[16:17]
	v_add_nc_u64_e32 v[8:9], v[8:9], v[16:17]
	s_delay_alu instid0(VALU_DEP_3) | instskip(NEXT) | instid1(VALU_DEP_1)
	v_lshlrev_b64_e32 v[4:5], 2, v[14:15]
	v_add_nc_u64_e32 v[18:19], v[18:19], v[4:5]
	s_delay_alu instid0(VALU_DEP_3) | instskip(NEXT) | instid1(VALU_DEP_2)
	v_add_nc_u64_e32 v[4:5], v[8:9], v[4:5]
	v_dual_cndmask_b32 v9, 0, v19 :: v_dual_cndmask_b32 v8, 0, v18
	ds_store_b64 v0, v[4:5]
	ds_store_b64 v0, v[8:9]
.LBB6_756:                              ;   in Loop: Header=BB6_754 Depth=3
	s_or_b32 exec_lo, exec_lo, s13
	v_sub_nc_u32_e32 v4, v3, v14
	v_and_b32_e32 v5, 12, v30
	s_mov_b32 s14, exec_lo
	s_delay_alu instid0(VALU_DEP_2) | instskip(NEXT) | instid1(VALU_DEP_2)
	v_min_i32_e32 v12, v12, v4
	v_cmpx_ne_u32_e32 0, v5
	s_cbranch_execz .LBB6_782
; %bb.757:                              ;   in Loop: Header=BB6_754 Depth=3
	v_dual_mov_b32 v11, v2 :: v_dual_bitop2_b32 v10, 8, v30 bitop3:0x40
	v_add_nc_u64_e32 v[8:9], 2, v[112:113]
	s_mov_b32 s15, exec_lo
	s_wait_loadcnt_dscnt 0x1
	s_delay_alu instid0(VALU_DEP_2) | instskip(NEXT) | instid1(VALU_DEP_1)
	v_add_nc_u64_e32 v[4:5], v[38:39], v[10:11]
	v_cmpx_lt_u64_e64 v[4:5], v[8:9]
	s_cbranch_execz .LBB6_769
; %bb.758:                              ;   in Loop: Header=BB6_754 Depth=3
	v_and_b32_e32 v4, 64, v30
	s_mov_b32 s16, 0
	s_mov_b32 s73, 0
                                        ; implicit-def: $sgpr17
                                        ; implicit-def: $sgpr43
                                        ; implicit-def: $sgpr72
	s_delay_alu instid0(VALU_DEP_1)
	v_cmp_eq_u32_e32 vcc_lo, 0, v4
	s_branch .LBB6_762
.LBB6_759:                              ;   in Loop: Header=BB6_762 Depth=4
	s_wait_loadcnt_dscnt 0x0
	v_add_nc_u64_e32 v[4:5], v[38:39], v[10:11]
	s_or_b32 s76, s76, exec_lo
	s_delay_alu instid0(VALU_DEP_1)
	v_cmp_ge_u64_e64 s13, v[4:5], v[8:9]
	s_or_not1_b32 s75, s13, exec_lo
.LBB6_760:                              ;   in Loop: Header=BB6_762 Depth=4
	s_or_b32 exec_lo, exec_lo, s78
	s_delay_alu instid0(SALU_CYCLE_1)
	s_and_not1_b32 s13, s72, exec_lo
	s_and_b32 s72, s76, exec_lo
	s_and_not1_b32 s43, s43, exec_lo
	s_and_b32 s75, s75, exec_lo
	s_or_b32 s72, s13, s72
	s_or_b32 s43, s43, s75
.LBB6_761:                              ;   in Loop: Header=BB6_762 Depth=4
	s_or_b32 exec_lo, exec_lo, s74
	s_delay_alu instid0(SALU_CYCLE_1) | instskip(NEXT) | instid1(SALU_CYCLE_1)
	s_and_b32 s13, exec_lo, s43
	s_or_b32 s16, s13, s16
	s_and_not1_b32 s13, s17, exec_lo
	s_and_b32 s17, s72, exec_lo
	s_delay_alu instid0(SALU_CYCLE_1)
	s_or_b32 s17, s13, s17
	s_and_not1_b32 exec_lo, exec_lo, s16
	s_cbranch_execz .LBB6_766
.LBB6_762:                              ;   Parent Loop BB6_47 Depth=1
                                        ;     Parent Loop BB6_751 Depth=2
                                        ;       Parent Loop BB6_754 Depth=3
                                        ; =>      This Inner Loop Header: Depth=4
	s_sleep 1
	s_wait_loadcnt_dscnt 0x0
	flat_load_b64 v[38:39], v[26:27] scope:SCOPE_SYS
	s_or_b32 s72, s72, exec_lo
	s_or_b32 s43, s43, exec_lo
                                        ; implicit-def: $vgpr13
	s_wait_xcnt 0x0
	s_and_saveexec_b32 s74, vcc_lo
	s_cbranch_execz .LBB6_761
; %bb.763:                              ;   in Loop: Header=BB6_762 Depth=4
	s_cmp_lt_i32 s73, 0x270f
	s_mov_b32 s75, -1
	s_cselect_b32 s77, -1, 0
	s_cmp_gt_i32 s73, 0x270e
	s_cbranch_scc0 .LBB6_765
; %bb.764:                              ;   in Loop: Header=BB6_762 Depth=4
	s_trap 2
	ds_load_b64 v[4:5], v0
	s_and_not1_b32 s73, s77, exec_lo
	s_mov_b32 s76, 0
	s_wait_storecnt 0x0
	s_wait_loadcnt_dscnt 0x0
	flat_load_b32 v13, v[4:5] scope:SCOPE_SYS
	s_wait_loadcnt_dscnt 0x0
	global_inv scope:SCOPE_SYS
	v_cmp_eq_u32_e64 s13, 0, v13
	s_and_b32 s13, s13, exec_lo
	s_delay_alu instid0(SALU_CYCLE_1)
	s_or_b32 s77, s73, s13
	s_mov_b32 s73, 0
	s_and_saveexec_b32 s78, s77
	s_cbranch_execz .LBB6_760
	s_branch .LBB6_759
.LBB6_765:                              ;   in Loop: Header=BB6_762 Depth=4
	s_add_co_i32 s73, s73, 1
	s_mov_b32 s76, -1
                                        ; implicit-def: $vgpr13
	s_and_saveexec_b32 s78, s77
	s_cbranch_execz .LBB6_760
	s_branch .LBB6_759
.LBB6_766:                              ;   in Loop: Header=BB6_754 Depth=3
	s_or_b32 exec_lo, exec_lo, s16
	s_xor_b32 s13, s17, -1
	s_delay_alu instid0(SALU_CYCLE_1) | instskip(NEXT) | instid1(SALU_CYCLE_1)
	s_and_saveexec_b32 s16, s13
	s_xor_b32 s13, exec_lo, s16
	s_cbranch_execz .LBB6_768
; %bb.767:                              ;   in Loop: Header=BB6_754 Depth=3
	v_or_b32_e32 v30, 64, v30
	s_wait_storecnt 0x0
	s_wait_loadcnt_dscnt 0x0
	ds_store_b32 v0, v13
	s_trap 2
.LBB6_768:                              ;   in Loop: Header=BB6_754 Depth=3
	s_or_b32 exec_lo, exec_lo, s13
.LBB6_769:                              ;   in Loop: Header=BB6_754 Depth=3
	s_delay_alu instid0(SALU_CYCLE_1) | instskip(SKIP_3) | instid1(VALU_DEP_1)
	s_or_b32 exec_lo, exec_lo, s15
	v_and_b32_e32 v4, 0x108, v30
	s_mov_b32 s13, exec_lo
	;;#ASMSTART
	s_wakeup
	;;#ASMEND
                                        ; implicit-def: $vgpr18_vgpr19
	v_cmpx_ne_u32_e32 0x108, v4
	s_xor_b32 s13, exec_lo, s13
; %bb.770:                              ;   in Loop: Header=BB6_754 Depth=3
	v_dual_mov_b32 v19, v2 :: v_dual_bitop2_b32 v18, 7, v112 bitop3:0x40
                                        ; implicit-def: $vgpr112_vgpr113
; %bb.771:                              ;   in Loop: Header=BB6_754 Depth=3
	s_and_not1_saveexec_b32 s13, s13
	s_cbranch_execz .LBB6_773
; %bb.772:                              ;   in Loop: Header=BB6_754 Depth=3
	v_dual_mov_b32 v19, v2 :: v_dual_bitop2_b32 v18, 7, v112 bitop3:0x40
	v_ashrrev_i32_e32 v13, 31, v12
	s_delay_alu instid0(VALU_DEP_2) | instskip(NEXT) | instid1(VALU_DEP_2)
	v_mad_nc_u64_u32 v[4:5], v18, 24, v[6:7]
	v_lshlrev_b64_e32 v[22:23], 2, v[12:13]
	flat_store_b64 v[4:5], v[22:23] offset:8
.LBB6_773:                              ;   in Loop: Header=BB6_754 Depth=3
	s_wait_xcnt 0x0
	s_or_b32 exec_lo, exec_lo, s13
	v_and_b32_e32 v4, 0x100, v30
	s_mov_b32 s13, -1
	s_mov_b32 s15, exec_lo
                                        ; implicit-def: $vgpr112_vgpr113
	s_delay_alu instid0(VALU_DEP_1)
	v_cmpx_ne_u32_e32 0, v4
	s_cbranch_execz .LBB6_777
; %bb.774:                              ;   in Loop: Header=BB6_754 Depth=3
	v_mad_nc_u64_u32 v[118:119], v18, 24, v[6:7]
	s_mov_b32 s16, exec_lo
                                        ; implicit-def: $vgpr112_vgpr113
	s_delay_alu instid0(VALU_DEP_1)
	v_mad_u32 v119, v19, 24, v119
	flat_load_b32 v4, v[118:119]
	s_wait_loadcnt_dscnt 0x0
	v_cmp_ne_u32_e32 vcc_lo, 1, v4
	s_wait_xcnt 0x0
	v_cmpx_eq_u32_e32 1, v4
	s_cbranch_execz .LBB6_776
; %bb.775:                              ;   in Loop: Header=BB6_754 Depth=3
	flat_load_b32 v4, v[118:119] offset:4 scope:SCOPE_SYS
	s_wait_loadcnt_dscnt 0x0
	v_ashrrev_i32_e32 v5, 31, v4
	s_delay_alu instid0(VALU_DEP_1)
	v_lshrrev_b64 v[112:113], 2, v[4:5]
.LBB6_776:                              ;   in Loop: Header=BB6_754 Depth=3
	s_wait_xcnt 0x0
	s_or_b32 exec_lo, exec_lo, s16
	s_delay_alu instid0(SALU_CYCLE_1)
	s_or_not1_b32 s13, vcc_lo, exec_lo
.LBB6_777:                              ;   in Loop: Header=BB6_754 Depth=3
	s_or_b32 exec_lo, exec_lo, s15
	s_and_saveexec_b32 s15, s13
; %bb.778:                              ;   in Loop: Header=BB6_754 Depth=3
	v_mul_u64_e32 v[112:113], v[18:19], v[28:29]
; %bb.779:                              ;   in Loop: Header=BB6_754 Depth=3
	s_or_b32 exec_lo, exec_lo, s15
	v_cmp_eq_u32_e32 vcc_lo, 0, v10
	v_and_b32_e32 v11, 0x2000, v30
	s_delay_alu instid0(VALU_DEP_3) | instskip(SKIP_2) | instid1(VALU_DEP_1)
	v_lshl_add_u64 v[4:5], v[112:113], 2, v[32:33]
	s_mov_b32 s13, exec_lo
	v_cndmask_b32_e32 v10, 0xd0, v91, vcc_lo
	v_add_nc_u32_e32 v10, v0, v10
	ds_store_b64 v10, v[4:5] offset:584
	v_cmpx_ne_u32_e32 0, v11
	s_cbranch_execz .LBB6_781
; %bb.780:                              ;   in Loop: Header=BB6_754 Depth=3
	ds_load_b64 v[4:5], v0 offset:872
	s_wait_dscnt 0x0
	v_add_nc_u64_e32 v[4:5], 1, v[4:5]
	ds_store_b64 v0, v[4:5] offset:872
.LBB6_781:                              ;   in Loop: Header=BB6_754 Depth=3
	s_or_b32 exec_lo, exec_lo, s13
	v_mov_b64_e32 v[112:113], v[8:9]
.LBB6_782:                              ;   in Loop: Header=BB6_754 Depth=3
	s_or_b32 exec_lo, exec_lo, s14
	s_and_saveexec_b32 s13, s2
	s_cbranch_execz .LBB6_801
; %bb.783:                              ;   in Loop: Header=BB6_754 Depth=3
	s_and_saveexec_b32 s14, s3
	s_delay_alu instid0(SALU_CYCLE_1)
	s_xor_b32 s14, exec_lo, s14
	s_cbranch_execz .LBB6_798
; %bb.784:                              ;   in Loop: Header=BB6_754 Depth=3
	s_and_saveexec_b32 s15, s6
	s_cbranch_execz .LBB6_797
; %bb.785:                              ;   in Loop: Header=BB6_754 Depth=3
	s_mov_b32 s17, exec_lo
	s_mov_b32 s16, exec_lo
	v_mbcnt_lo_u32_b32 v4, s17, 0
	global_wb scope:SCOPE_DEV
	s_wait_storecnt 0x0
	s_wait_loadcnt_dscnt 0x0
	global_inv scope:SCOPE_DEV
	v_cmpx_eq_u32_e32 0, v4
	s_cbranch_execz .LBB6_787
; %bb.786:                              ;   in Loop: Header=BB6_754 Depth=3
	s_bcnt1_i32_b32 s17, s17
	s_delay_alu instid0(SALU_CYCLE_1)
	v_dual_mov_b32 v5, v2 :: v_dual_mov_b32 v4, s17
	s_wait_loadcnt 0x0
	ds_add_u64 v0, v[4:5]
	s_trap 2
.LBB6_787:                              ;   in Loop: Header=BB6_754 Depth=3
	s_or_b32 exec_lo, exec_lo, s16
	s_trap 2
	ds_load_b64 v[4:5], v0
	s_wait_dscnt 0x0
	v_add_nc_u64_e32 v[36:37], v[36:37], v[48:49]
	s_mov_b32 s16, exec_lo
	s_delay_alu instid0(VALU_DEP_1)
	v_cmpx_lt_u64_e64 v[4:5], v[36:37]
	s_cbranch_execz .LBB6_796
; %bb.788:                              ;   in Loop: Header=BB6_754 Depth=3
	s_mov_b32 s17, 0
	s_mov_b32 s73, 0
                                        ; implicit-def: $sgpr43
                                        ; implicit-def: $sgpr72
	s_branch .LBB6_790
.LBB6_789:                              ;   in Loop: Header=BB6_790 Depth=4
	s_or_b32 exec_lo, exec_lo, s75
	s_delay_alu instid0(SALU_CYCLE_1) | instskip(NEXT) | instid1(SALU_CYCLE_1)
	s_and_b32 s74, exec_lo, s76
	s_or_b32 s17, s74, s17
	s_and_not1_b32 s43, s43, exec_lo
	s_and_b32 s74, s72, exec_lo
	s_delay_alu instid0(SALU_CYCLE_1)
	s_or_b32 s43, s43, s74
	s_and_not1_b32 exec_lo, exec_lo, s17
	s_cbranch_execz .LBB6_794
.LBB6_790:                              ;   Parent Loop BB6_47 Depth=1
                                        ;     Parent Loop BB6_751 Depth=2
                                        ;       Parent Loop BB6_754 Depth=3
                                        ; =>      This Inner Loop Header: Depth=4
	s_add_co_i32 s73, s73, 1
	s_delay_alu instid0(SALU_CYCLE_1) | instskip(SKIP_1) | instid1(SALU_CYCLE_1)
	s_cmp_lg_u32 s73, 0x2710
	s_cselect_b32 s74, -1, 0
	s_and_b32 vcc_lo, exec_lo, s74
	s_cbranch_vccz .LBB6_792
; %bb.791:                              ;   in Loop: Header=BB6_790 Depth=4
	s_mov_b32 s76, -1
	s_or_b32 s72, s72, exec_lo
	s_and_saveexec_b32 s75, s74
	s_cbranch_execz .LBB6_789
	s_branch .LBB6_793
.LBB6_792:                              ;   in Loop: Header=BB6_790 Depth=4
	s_trap 2
	ds_load_b64 v[4:5], v0
	s_and_not1_b32 s74, s74, exec_lo
	s_mov_b32 s73, 0
	s_wait_loadcnt_dscnt 0x0
	flat_load_b32 v4, v[4:5] scope:SCOPE_SYS
	s_wait_loadcnt_dscnt 0x0
	global_inv scope:SCOPE_SYS
	v_cmp_eq_u32_e32 vcc_lo, 0, v4
	s_and_b32 s75, vcc_lo, exec_lo
	s_delay_alu instid0(SALU_CYCLE_1)
	s_or_b32 s74, s74, s75
	s_mov_b32 s76, -1
	s_or_b32 s72, s72, exec_lo
	s_and_saveexec_b32 s75, s74
	s_cbranch_execz .LBB6_789
.LBB6_793:                              ;   in Loop: Header=BB6_790 Depth=4
	s_sleep 1
	s_trap 2
	ds_load_b64 v[4:5], v0
	s_wait_dscnt 0x0
	s_and_not1_b32 s72, s72, exec_lo
	v_cmp_ge_u64_e32 vcc_lo, v[4:5], v[36:37]
	s_or_not1_b32 s76, vcc_lo, exec_lo
	s_branch .LBB6_789
.LBB6_794:                              ;   in Loop: Header=BB6_754 Depth=3
	s_or_b32 exec_lo, exec_lo, s17
	s_and_saveexec_b32 s17, s43
	s_delay_alu instid0(SALU_CYCLE_1)
	s_xor_b32 s17, exec_lo, s17
	s_cbranch_execz .LBB6_796
; %bb.795:                              ;   in Loop: Header=BB6_754 Depth=3
	ds_store_b32 v0, v89
	s_trap 2
.LBB6_796:                              ;   in Loop: Header=BB6_754 Depth=3
	s_or_b32 exec_lo, exec_lo, s16
	;;#ASMSTART
	s_wakeup
	;;#ASMEND
.LBB6_797:                              ;   in Loop: Header=BB6_754 Depth=3
	s_or_b32 exec_lo, exec_lo, s15
.LBB6_798:                              ;   in Loop: Header=BB6_754 Depth=3
	s_and_not1_saveexec_b32 s14, s14
	s_cbranch_execz .LBB6_800
; %bb.799:                              ;   in Loop: Header=BB6_754 Depth=3
	global_wb scope:SCOPE_DEV
	s_wait_storecnt 0x0
	s_wait_loadcnt_dscnt 0x0
	global_inv scope:SCOPE_DEV
	s_barrier_signal -1
	s_barrier_wait -1
.LBB6_800:                              ;   in Loop: Header=BB6_754 Depth=3
	s_or_b32 exec_lo, exec_lo, s14
.LBB6_801:                              ;   in Loop: Header=BB6_754 Depth=3
	s_delay_alu instid0(SALU_CYCLE_1) | instskip(SKIP_4) | instid1(VALU_DEP_1)
	s_or_b32 exec_lo, exec_lo, s13
	s_trap 2
	ds_load_b32 v8, v0
	v_and_b32_e32 v4, 0x4000, v30
	s_xor_b32 s13, s1, -1
	v_cmp_ne_u32_e32 vcc_lo, 0, v4
	s_and_b32 s14, s13, vcc_lo
	s_delay_alu instid0(SALU_CYCLE_1)
	s_and_saveexec_b32 s13, s14
	s_cbranch_execz .LBB6_820
; %bb.802:                              ;   in Loop: Header=BB6_754 Depth=3
	s_and_saveexec_b32 s14, s3
	s_delay_alu instid0(SALU_CYCLE_1)
	s_xor_b32 s14, exec_lo, s14
	s_cbranch_execz .LBB6_817
; %bb.803:                              ;   in Loop: Header=BB6_754 Depth=3
	s_and_saveexec_b32 s15, s6
	s_cbranch_execz .LBB6_816
; %bb.804:                              ;   in Loop: Header=BB6_754 Depth=3
	s_mov_b32 s17, exec_lo
	s_mov_b32 s16, exec_lo
	v_mbcnt_lo_u32_b32 v4, s17, 0
	global_wb scope:SCOPE_DEV
	s_wait_storecnt 0x0
	s_wait_loadcnt_dscnt 0x0
	global_inv scope:SCOPE_DEV
	v_cmpx_eq_u32_e32 0, v4
	s_cbranch_execz .LBB6_806
; %bb.805:                              ;   in Loop: Header=BB6_754 Depth=3
	s_bcnt1_i32_b32 s17, s17
	s_delay_alu instid0(SALU_CYCLE_1)
	v_dual_mov_b32 v5, v2 :: v_dual_mov_b32 v4, s17
	s_wait_loadcnt 0x0
	ds_add_u64 v0, v[4:5]
	s_trap 2
.LBB6_806:                              ;   in Loop: Header=BB6_754 Depth=3
	s_or_b32 exec_lo, exec_lo, s16
	s_trap 2
	ds_load_b64 v[4:5], v0
	s_wait_dscnt 0x0
	v_add_nc_u64_e32 v[36:37], v[36:37], v[48:49]
	s_mov_b32 s16, exec_lo
	s_delay_alu instid0(VALU_DEP_1)
	v_cmpx_lt_u64_e64 v[4:5], v[36:37]
	s_cbranch_execz .LBB6_815
; %bb.807:                              ;   in Loop: Header=BB6_754 Depth=3
	s_mov_b32 s17, 0
	s_mov_b32 s73, 0
                                        ; implicit-def: $sgpr43
                                        ; implicit-def: $sgpr72
	s_branch .LBB6_809
.LBB6_808:                              ;   in Loop: Header=BB6_809 Depth=4
	s_or_b32 exec_lo, exec_lo, s75
	s_delay_alu instid0(SALU_CYCLE_1) | instskip(NEXT) | instid1(SALU_CYCLE_1)
	s_and_b32 s74, exec_lo, s76
	s_or_b32 s17, s74, s17
	s_and_not1_b32 s43, s43, exec_lo
	s_and_b32 s74, s72, exec_lo
	s_delay_alu instid0(SALU_CYCLE_1)
	s_or_b32 s43, s43, s74
	s_and_not1_b32 exec_lo, exec_lo, s17
	s_cbranch_execz .LBB6_813
.LBB6_809:                              ;   Parent Loop BB6_47 Depth=1
                                        ;     Parent Loop BB6_751 Depth=2
                                        ;       Parent Loop BB6_754 Depth=3
                                        ; =>      This Inner Loop Header: Depth=4
	s_add_co_i32 s73, s73, 1
	s_delay_alu instid0(SALU_CYCLE_1) | instskip(SKIP_1) | instid1(SALU_CYCLE_1)
	s_cmp_lg_u32 s73, 0x2710
	s_cselect_b32 s74, -1, 0
	s_and_b32 vcc_lo, exec_lo, s74
	s_cbranch_vccz .LBB6_811
; %bb.810:                              ;   in Loop: Header=BB6_809 Depth=4
	s_mov_b32 s76, -1
	s_or_b32 s72, s72, exec_lo
	s_and_saveexec_b32 s75, s74
	s_cbranch_execz .LBB6_808
	s_branch .LBB6_812
.LBB6_811:                              ;   in Loop: Header=BB6_809 Depth=4
	s_trap 2
	ds_load_b64 v[4:5], v0
	s_and_not1_b32 s74, s74, exec_lo
	s_mov_b32 s73, 0
	s_wait_loadcnt_dscnt 0x0
	flat_load_b32 v4, v[4:5] scope:SCOPE_SYS
	s_wait_loadcnt_dscnt 0x0
	global_inv scope:SCOPE_SYS
	v_cmp_eq_u32_e32 vcc_lo, 0, v4
	s_and_b32 s75, vcc_lo, exec_lo
	s_delay_alu instid0(SALU_CYCLE_1)
	s_or_b32 s74, s74, s75
	s_mov_b32 s76, -1
	s_or_b32 s72, s72, exec_lo
	s_and_saveexec_b32 s75, s74
	s_cbranch_execz .LBB6_808
.LBB6_812:                              ;   in Loop: Header=BB6_809 Depth=4
	s_sleep 1
	s_trap 2
	ds_load_b64 v[4:5], v0
	s_wait_dscnt 0x0
	s_and_not1_b32 s72, s72, exec_lo
	v_cmp_ge_u64_e32 vcc_lo, v[4:5], v[36:37]
	s_or_not1_b32 s76, vcc_lo, exec_lo
	s_branch .LBB6_808
.LBB6_813:                              ;   in Loop: Header=BB6_754 Depth=3
	s_or_b32 exec_lo, exec_lo, s17
	s_and_saveexec_b32 s17, s43
	s_delay_alu instid0(SALU_CYCLE_1)
	s_xor_b32 s17, exec_lo, s17
	s_cbranch_execz .LBB6_815
; %bb.814:                              ;   in Loop: Header=BB6_754 Depth=3
	ds_store_b32 v0, v89
	s_trap 2
.LBB6_815:                              ;   in Loop: Header=BB6_754 Depth=3
	s_or_b32 exec_lo, exec_lo, s16
	;;#ASMSTART
	s_wakeup
	;;#ASMEND
.LBB6_816:                              ;   in Loop: Header=BB6_754 Depth=3
	s_or_b32 exec_lo, exec_lo, s15
.LBB6_817:                              ;   in Loop: Header=BB6_754 Depth=3
	s_and_not1_saveexec_b32 s14, s14
	s_cbranch_execz .LBB6_819
; %bb.818:                              ;   in Loop: Header=BB6_754 Depth=3
	global_wb scope:SCOPE_DEV
	s_wait_storecnt 0x0
	s_wait_loadcnt_dscnt 0x0
	global_inv scope:SCOPE_DEV
	s_barrier_signal -1
	s_barrier_wait -1
.LBB6_819:                              ;   in Loop: Header=BB6_754 Depth=3
	s_or_b32 exec_lo, exec_lo, s14
.LBB6_820:                              ;   in Loop: Header=BB6_754 Depth=3
	s_delay_alu instid0(SALU_CYCLE_1)
	s_or_b32 exec_lo, exec_lo, s13
	s_trap 2
	ds_load_b64 v[18:19], v0
	s_wait_dscnt 0x0
	v_cmp_eq_u64_e32 vcc_lo, 0, v[18:19]
	s_cbranch_vccnz .LBB6_829
; %bb.821:                              ;   in Loop: Header=BB6_754 Depth=3
	s_trap 2
	ds_load_b64 v[118:119], v0
	s_wait_dscnt 0x0
	v_cmp_eq_u64_e32 vcc_lo, 0, v[118:119]
	s_cbranch_vccnz .LBB6_829
; %bb.822:                              ;   in Loop: Header=BB6_754 Depth=3
	s_trap 2
	ds_load_b64 v[40:41], v0
	v_cmp_eq_u32_e32 vcc_lo, 0, v8
	s_mov_b32 s13, -1
	v_cndmask_b32_e32 v13, 0, v12, vcc_lo
	s_delay_alu instid0(VALU_DEP_1)
	v_lshlrev_b32_e32 v15, 2, v13
	s_wait_dscnt 0x0
	v_cmp_ne_u64_e32 vcc_lo, 0, v[40:41]
	s_cbranch_vccz .LBB6_858
; %bb.823:                              ;   in Loop: Header=BB6_754 Depth=3
	s_and_saveexec_b32 s14, s10
	s_cbranch_execz .LBB6_825
; %bb.824:                              ;   in Loop: Header=BB6_754 Depth=3
	ds_load_b32 v4, v0 offset:720
	s_wait_dscnt 0x0
	v_and_b32_e32 v4, 15, v4
	s_delay_alu instid0(VALU_DEP_1)
	v_cmp_eq_u32_e32 vcc_lo, 0, v4
	s_or_not1_b32 s13, vcc_lo, exec_lo
.LBB6_825:                              ;   in Loop: Header=BB6_754 Depth=3
	s_or_b32 exec_lo, exec_lo, s14
	s_and_saveexec_b32 s14, s11
	s_cbranch_execz .LBB6_827
; %bb.826:                              ;   in Loop: Header=BB6_754 Depth=3
	ds_load_b32 v4, v0 offset:784
	s_wait_dscnt 0x0
	v_and_b32_e32 v4, 15, v4
	s_delay_alu instid0(VALU_DEP_1) | instskip(SKIP_3) | instid1(SALU_CYCLE_1)
	v_cmp_eq_u32_e32 vcc_lo, 0, v4
	s_and_b32 s15, s13, vcc_lo
	s_and_not1_b32 s13, s13, exec_lo
	s_and_b32 s15, s15, exec_lo
	s_or_b32 s13, s13, s15
.LBB6_827:                              ;   in Loop: Header=BB6_754 Depth=3
	s_or_b32 exec_lo, exec_lo, s14
	s_xor_b32 s13, s13, -1
	v_dual_mov_b32 v44, 0 :: v_dual_mov_b32 v45, v15
	v_cndmask_b32_e64 v4, 0, 1, s13
	v_mov_b32_e32 v46, v0
	s_mov_b32 s13, -1
	s_delay_alu instid0(VALU_DEP_2)
	v_cmp_ne_u32_e32 vcc_lo, 0, v4
	s_cbranch_vccz .LBB6_834
; %bb.828:                              ;   in Loop: Header=BB6_754 Depth=3
	s_and_saveexec_b32 s15, s13
	s_cbranch_execnz .LBB6_847
	s_branch .LBB6_857
.LBB6_829:                              ;   in Loop: Header=BB6_754 Depth=3
	s_mov_b32 s13, 0
	s_and_saveexec_b32 s14, s2
	s_cbranch_execnz .LBB6_886
.LBB6_830:                              ;   in Loop: Header=BB6_754 Depth=3
	s_or_b32 exec_lo, exec_lo, s14
                                        ; implicit-def: $vgpr8
	s_and_saveexec_b32 s14, s12
	s_delay_alu instid0(SALU_CYCLE_1)
	s_xor_b32 s14, exec_lo, s14
	s_cbranch_execz .LBB6_904
.LBB6_831:                              ;   in Loop: Header=BB6_754 Depth=3
	v_and_b32_e32 v4, 16, v30
	v_and_b32_e32 v8, 16, v30
	s_delay_alu instid0(VALU_DEP_2) | instskip(SKIP_1) | instid1(SALU_CYCLE_1)
	v_cmp_ne_u32_e32 vcc_lo, 0, v4
	s_and_b32 s15, vcc_lo, s13
	s_and_saveexec_b32 s13, s15
	s_cbranch_execz .LBB6_833
; %bb.832:                              ;   in Loop: Header=BB6_754 Depth=3
	v_mov_b32_e32 v8, 1
	global_wb scope:SCOPE_SYS
	s_wait_storecnt 0x0
	s_wait_loadcnt_dscnt 0x0
	global_inv scope:SCOPE_SYS
.LBB6_833:                              ;   in Loop: Header=BB6_754 Depth=3
	s_or_b32 exec_lo, exec_lo, s13
	s_and_not1_saveexec_b32 s13, s14
	s_cbranch_execz .LBB6_923
	s_branch .LBB6_905
.LBB6_834:                              ;   in Loop: Header=BB6_754 Depth=3
	v_ashrrev_i32_e32 v4, 31, v15
	s_mov_b32 s13, exec_lo
	s_delay_alu instid0(VALU_DEP_1) | instskip(NEXT) | instid1(VALU_DEP_1)
	v_lshrrev_b32_e32 v4, 21, v4
	v_add_nc_u32_e32 v4, v15, v4
	s_delay_alu instid0(VALU_DEP_1) | instskip(NEXT) | instid1(VALU_DEP_1)
	v_ashrrev_i32_e32 v44, 11, v4
	v_sub_nc_u32_e32 v47, v44, v88
	s_delay_alu instid0(VALU_DEP_1)
	v_cmpx_lt_i32_e32 0, v47
	s_cbranch_execz .LBB6_838
; %bb.835:                              ;   in Loop: Header=BB6_754 Depth=3
	v_add_nc_u64_e32 v[8:9], v[18:19], v[70:71]
	v_add_nc_u64_e32 v[10:11], v[118:119], v[70:71]
	;; [unrolled: 1-line block ×3, first 2 shown]
	s_mov_b32 s14, 0
.LBB6_836:                              ;   Parent Loop BB6_47 Depth=1
                                        ;     Parent Loop BB6_751 Depth=2
                                        ;       Parent Loop BB6_754 Depth=3
                                        ; =>      This Inner Loop Header: Depth=4
	s_clause 0x3
	global_load_b128 v[22:25], v[8:9], off th:TH_LOAD_NT
	global_load_b128 v[50:53], v[8:9], off offset:512 th:TH_LOAD_NT
	global_load_b128 v[56:59], v[8:9], off offset:1024 th:TH_LOAD_NT
	;; [unrolled: 1-line block ×3, first 2 shown]
	v_sub_nc_u32_e32 v47, v47, v48
	s_wait_xcnt 0x0
	v_add_nc_u64_e32 v[8:9], v[8:9], v[80:81]
	s_wait_loadcnt 0x3
	global_store_b128 v[10:11], v[22:25], off th:TH_STORE_NT
	s_wait_loadcnt 0x2
	global_store_b128 v[10:11], v[50:53], off offset:512 th:TH_STORE_NT
	s_wait_loadcnt 0x1
	global_store_b128 v[10:11], v[56:59], off offset:1024 th:TH_STORE_NT
	;; [unrolled: 2-line block ×3, first 2 shown]
	s_clause 0x3
	global_store_b128 v[42:43], v[22:25], off th:TH_STORE_NT
	global_store_b128 v[42:43], v[50:53], off offset:512 th:TH_STORE_NT
	global_store_b128 v[42:43], v[56:59], off offset:1024 th:TH_STORE_NT
	;; [unrolled: 1-line block ×3, first 2 shown]
	v_cmp_gt_i32_e32 vcc_lo, 1, v47
	s_wait_xcnt 0x4
	v_add_nc_u64_e32 v[10:11], v[10:11], v[80:81]
	s_wait_xcnt 0x0
	v_add_nc_u64_e32 v[42:43], v[42:43], v[80:81]
	s_or_b32 s14, vcc_lo, s14
	s_delay_alu instid0(SALU_CYCLE_1)
	s_and_not1_b32 exec_lo, exec_lo, s14
	s_cbranch_execnz .LBB6_836
; %bb.837:                              ;   in Loop: Header=BB6_754 Depth=3
	s_or_b32 exec_lo, exec_lo, s14
.LBB6_838:                              ;   in Loop: Header=BB6_754 Depth=3
	s_delay_alu instid0(SALU_CYCLE_1) | instskip(SKIP_3) | instid1(VALU_DEP_1)
	s_or_b32 exec_lo, exec_lo, s13
	v_dual_lshlrev_b32 v56, 11, v44 :: v_dual_mov_b32 v44, 0
	s_mov_b32 s13, 0
	s_mov_b32 s43, exec_lo
                                        ; implicit-def: $vgpr45
                                        ; implicit-def: $vgpr46
	v_cmpx_ne_u32_e64 v15, v56
	s_cbranch_execz .LBB6_846
; %bb.839:                              ;   in Loop: Header=BB6_754 Depth=3
	v_dual_lshlrev_b32 v4, 5, v47 :: v_dual_sub_nc_u32 v9, v15, v56
	s_mov_b32 s72, exec_lo
	s_delay_alu instid0(VALU_DEP_1) | instskip(NEXT) | instid1(VALU_DEP_1)
	v_dual_sub_nc_u32 v4, v124, v4 :: v_dual_ashrrev_i32 v8, 31, v9
	v_ashrrev_i32_e32 v5, 31, v4
	s_delay_alu instid0(VALU_DEP_1) | instskip(NEXT) | instid1(VALU_DEP_1)
	v_dual_lshrrev_b32 v8, 23, v8 :: v_dual_lshrrev_b32 v5, 27, v5
	v_add_nc_u32_e32 v5, v4, v5
	s_delay_alu instid0(VALU_DEP_1) | instskip(NEXT) | instid1(VALU_DEP_1)
	v_and_b32_e32 v10, 0xffffffe0, v5
	v_dual_add_nc_u32 v8, v9, v8 :: v_dual_sub_nc_u32 v57, v4, v10
	s_delay_alu instid0(VALU_DEP_1) | instskip(SKIP_1) | instid1(VALU_DEP_2)
	v_and_b32_e32 v58, 0xfffffe00, v8
	v_dual_ashrrev_i32 v4, 5, v5 :: v_dual_ashrrev_i32 v10, 9, v8
	v_dual_lshlrev_b32 v5, 4, v57 :: v_dual_sub_nc_u32 v59, v9, v58
	s_delay_alu instid0(VALU_DEP_1) | instskip(NEXT) | instid1(VALU_DEP_2)
	v_lshl_add_u32 v8, v4, 9, v5
	v_cmp_lt_i32_e64 s13, 15, v59
	s_delay_alu instid0(VALU_DEP_2) | instskip(NEXT) | instid1(VALU_DEP_2)
	v_sub_nc_u32_e32 v61, v9, v8
	v_add_co_ci_u32_e64 v5, null, 0, v10, s13
	s_delay_alu instid0(VALU_DEP_1) | instskip(NEXT) | instid1(VALU_DEP_3)
	v_sub_nc_u32_e32 v60, v5, v4
	v_cmpx_lt_i32_e32 15, v61
	s_cbranch_execz .LBB6_845
; %bb.840:                              ;   in Loop: Header=BB6_754 Depth=3
	v_add_nc_u32_e32 v4, v8, v56
	s_mov_b32 s73, 0
	s_delay_alu instid0(VALU_DEP_1) | instskip(NEXT) | instid1(VALU_DEP_1)
	v_ashrrev_i32_e32 v5, 31, v4
	v_add_nc_u64_e32 v[42:43], v[4:5], v[18:19]
	v_add_nc_u64_e32 v[44:45], v[4:5], v[118:119]
	;; [unrolled: 1-line block ×3, first 2 shown]
.LBB6_841:                              ;   Parent Loop BB6_47 Depth=1
                                        ;     Parent Loop BB6_751 Depth=2
                                        ;       Parent Loop BB6_754 Depth=3
                                        ; =>      This Loop Header: Depth=4
                                        ;           Child Loop BB6_842 Depth 5
	global_load_b128 v[8:11], v[42:43], off th:TH_LOAD_NT
	s_mov_b64 s[16:17], 0
	s_mov_b32 s74, -1
.LBB6_842:                              ;   Parent Loop BB6_47 Depth=1
                                        ;     Parent Loop BB6_751 Depth=2
                                        ;       Parent Loop BB6_754 Depth=3
                                        ;         Parent Loop BB6_841 Depth=4
                                        ; =>        This Inner Loop Header: Depth=5
	s_cmp_eq_u32 s16, 1
	s_cselect_b32 vcc_lo, -1, 0
	s_cmp_eq_u32 s16, 0
	s_wait_xcnt 0x0
	v_dual_cndmask_b32 v5, v45, v47 :: v_dual_cndmask_b32 v4, v44, v46
	s_cselect_b32 s14, -1, 0
	s_and_b32 s15, exec_lo, s74
	s_mov_b64 s[16:17], 1
	s_mov_b32 s74, 0
	v_add_nc_u64_e32 v[22:23], 0x200, v[4:5]
	s_wait_loadcnt 0x0
	global_store_b128 v[4:5], v[8:11], off th:TH_STORE_NT
	v_dual_cndmask_b32 v47, v47, v23 :: v_dual_cndmask_b32 v46, v46, v22
	v_dual_cndmask_b32 v45, v45, v23, s14 :: v_dual_cndmask_b32 v44, v44, v22, s14
	s_mov_b32 vcc_lo, s15
	s_cbranch_vccnz .LBB6_842
; %bb.843:                              ;   in Loop: Header=BB6_841 Depth=4
	v_sub_nc_u32_e32 v61, v61, v64
	s_delay_alu instid0(VALU_DEP_2)
	v_add_nc_u64_e32 v[44:45], v[44:45], v[86:87]
	v_add_nc_u64_e32 v[46:47], v[46:47], v[86:87]
	s_wait_xcnt 0x1
	v_add_nc_u64_e32 v[42:43], v[98:99], v[42:43]
	v_sub_nc_u32_e32 v60, v60, v48
	v_cmp_gt_i32_e32 vcc_lo, 16, v61
	s_or_b32 s73, vcc_lo, s73
	s_wait_xcnt 0x0
	s_and_not1_b32 exec_lo, exec_lo, s73
	s_cbranch_execnz .LBB6_841
; %bb.844:                              ;   in Loop: Header=BB6_754 Depth=3
	s_or_b32 exec_lo, exec_lo, s73
.LBB6_845:                              ;   in Loop: Header=BB6_754 Depth=3
	s_delay_alu instid0(SALU_CYCLE_1) | instskip(NEXT) | instid1(VALU_DEP_2)
	s_or_b32 exec_lo, exec_lo, s72
	v_cmp_lt_i32_e32 vcc_lo, 0, v60
	v_dual_cndmask_b32 v8, 0, v48, vcc_lo :: v_dual_bitop2_b32 v4, 12, v15 bitop3:0x40
	s_delay_alu instid0(VALU_DEP_1) | instskip(NEXT) | instid1(VALU_DEP_1)
	v_dual_sub_nc_u32 v5, v59, v4 :: v_dual_cndmask_b32 v45, v59, v4, s13
	v_dual_cndmask_b32 v4, 0, v5, s13 :: v_dual_sub_nc_u32 v5, v8, v60
	s_delay_alu instid0(VALU_DEP_2) | instskip(NEXT) | instid1(VALU_DEP_2)
	v_cmp_ne_u32_e32 vcc_lo, 0, v45
	v_add3_u32 v44, v58, v56, v4
	s_delay_alu instid0(VALU_DEP_3)
	v_lshl_add_u32 v46, v5, 5, v57
	s_and_b32 s13, vcc_lo, exec_lo
.LBB6_846:                              ;   in Loop: Header=BB6_754 Depth=3
	s_or_b32 exec_lo, exec_lo, s43
	s_and_saveexec_b32 s15, s13
	s_cbranch_execz .LBB6_857
.LBB6_847:                              ;   in Loop: Header=BB6_754 Depth=3
	v_dual_ashrrev_i32 v4, 31, v46 :: v_dual_ashrrev_i32 v5, 31, v45
	s_mov_b32 s13, exec_lo
	s_delay_alu instid0(VALU_DEP_1) | instskip(NEXT) | instid1(VALU_DEP_1)
	v_dual_lshrrev_b32 v4, 27, v4 :: v_dual_lshrrev_b32 v5, 22, v5
	v_dual_add_nc_u32 v8, v46, v4 :: v_dual_add_nc_u32 v4, v45, v5
	s_delay_alu instid0(VALU_DEP_1) | instskip(NEXT) | instid1(VALU_DEP_2)
	v_ashrrev_i32_e32 v47, 5, v8
	v_ashrrev_i32_e32 v57, 10, v4
	s_delay_alu instid0(VALU_DEP_1) | instskip(NEXT) | instid1(VALU_DEP_1)
	v_sub_nc_u32_e32 v56, v57, v47
	v_cmpx_lt_i32_e32 0, v56
	s_cbranch_execz .LBB6_851
; %bb.848:                              ;   in Loop: Header=BB6_754 Depth=3
	v_and_b32_e32 v4, 0x3fffffe0, v8
	v_add_nc_u64_e32 v[22:23], 0x380, v[18:19]
	s_mov_b32 s14, 0
	s_delay_alu instid0(VALU_DEP_2) | instskip(NEXT) | instid1(VALU_DEP_1)
	v_dual_lshlrev_b32 v5, 10, v47 :: v_dual_sub_nc_u32 v4, v46, v4
	v_lshlrev_b32_e32 v4, 2, v4
	s_delay_alu instid0(VALU_DEP_1) | instskip(NEXT) | instid1(VALU_DEP_1)
	v_add3_u32 v4, v4, v44, v5
	v_ashrrev_i32_e32 v5, 31, v4
	s_delay_alu instid0(VALU_DEP_1)
	v_add_nc_u64_e32 v[8:9], v[4:5], v[118:119]
	v_add_nc_u64_e32 v[10:11], v[4:5], v[40:41]
	;; [unrolled: 1-line block ×3, first 2 shown]
.LBB6_849:                              ;   Parent Loop BB6_47 Depth=1
                                        ;     Parent Loop BB6_751 Depth=2
                                        ;       Parent Loop BB6_754 Depth=3
                                        ; =>      This Inner Loop Header: Depth=4
	s_clause 0x7
	flat_load_b32 v4, v[42:43] offset:-896 th:TH_LOAD_NT
	flat_load_b32 v5, v[42:43] offset:-768 th:TH_LOAD_NT
	;; [unrolled: 1-line block ×7, first 2 shown]
	flat_load_b32 v51, v[42:43] th:TH_LOAD_NT
	v_sub_nc_u32_e32 v56, v56, v48
	s_wait_xcnt 0x0
	v_add_nc_u64_e32 v[42:43], v[42:43], v[66:67]
	s_wait_loadcnt_dscnt 0x707
	flat_store_b32 v[8:9], v4 th:TH_STORE_NT
	s_wait_loadcnt_dscnt 0x607
	flat_store_b32 v[8:9], v5 offset:128 th:TH_STORE_NT
	s_wait_loadcnt_dscnt 0x507
	flat_store_b32 v[8:9], v22 offset:256 th:TH_STORE_NT
	;; [unrolled: 2-line block ×7, first 2 shown]
	s_clause 0x7
	flat_store_b32 v[10:11], v4 th:TH_STORE_NT
	flat_store_b32 v[10:11], v5 offset:128 th:TH_STORE_NT
	flat_store_b32 v[10:11], v22 offset:256 th:TH_STORE_NT
	;; [unrolled: 1-line block ×7, first 2 shown]
	v_cmp_gt_i32_e32 vcc_lo, 1, v56
	s_wait_xcnt 0x8
	v_add_nc_u64_e32 v[8:9], v[8:9], v[66:67]
	s_wait_xcnt 0x0
	v_add_nc_u64_e32 v[10:11], v[10:11], v[66:67]
	s_or_b32 s14, vcc_lo, s14
	s_delay_alu instid0(SALU_CYCLE_1)
	s_and_not1_b32 exec_lo, exec_lo, s14
	s_cbranch_execnz .LBB6_849
; %bb.850:                              ;   in Loop: Header=BB6_754 Depth=3
	s_or_b32 exec_lo, exec_lo, s14
.LBB6_851:                              ;   in Loop: Header=BB6_754 Depth=3
	s_delay_alu instid0(SALU_CYCLE_1) | instskip(SKIP_1) | instid1(VALU_DEP_1)
	s_or_b32 exec_lo, exec_lo, s13
	v_lshlrev_b32_e32 v8, 10, v57
	v_cmp_ne_u32_e32 vcc_lo, v45, v8
	s_and_b32 exec_lo, exec_lo, vcc_lo
	s_cbranch_execz .LBB6_857
; %bb.852:                              ;   in Loop: Header=BB6_754 Depth=3
	v_dual_lshlrev_b32 v4, 5, v47 :: v_dual_lshlrev_b32 v5, 5, v56
	s_delay_alu instid0(VALU_DEP_1) | instskip(NEXT) | instid1(VALU_DEP_1)
	v_sub_nc_u32_e32 v4, v46, v4
	v_sub_nc_u32_e32 v4, v4, v5
	s_delay_alu instid0(VALU_DEP_1) | instskip(NEXT) | instid1(VALU_DEP_1)
	v_ashrrev_i32_e32 v5, 31, v4
	v_lshrrev_b32_e32 v5, 27, v5
	s_delay_alu instid0(VALU_DEP_1) | instskip(NEXT) | instid1(VALU_DEP_1)
	v_add_nc_u32_e32 v5, v4, v5
	v_and_b32_e32 v9, 0x3fffffe0, v5
	v_lshlrev_b32_e32 v5, 2, v5
	s_delay_alu instid0(VALU_DEP_2) | instskip(NEXT) | instid1(VALU_DEP_2)
	v_sub_nc_u32_e32 v4, v4, v9
	v_and_b32_e32 v5, 0xffffff80, v5
	s_delay_alu instid0(VALU_DEP_2) | instskip(NEXT) | instid1(VALU_DEP_1)
	v_lshlrev_b32_e32 v4, 2, v4
	v_add3_u32 v8, v5, v4, v8
	s_delay_alu instid0(VALU_DEP_1) | instskip(NEXT) | instid1(VALU_DEP_1)
	v_sub_nc_u32_e32 v42, v45, v8
	v_cmp_lt_i32_e32 vcc_lo, 3, v42
	s_and_b32 exec_lo, exec_lo, vcc_lo
	s_cbranch_execz .LBB6_857
; %bb.853:                              ;   in Loop: Header=BB6_754 Depth=3
	v_add_nc_u32_e32 v4, v8, v44
	s_mov_b32 s43, 0
	s_delay_alu instid0(VALU_DEP_1) | instskip(NEXT) | instid1(VALU_DEP_1)
	v_ashrrev_i32_e32 v5, 31, v4
	v_add_nc_u64_e32 v[8:9], v[4:5], v[18:19]
	v_add_nc_u64_e32 v[10:11], v[4:5], v[118:119]
	;; [unrolled: 1-line block ×3, first 2 shown]
.LBB6_854:                              ;   Parent Loop BB6_47 Depth=1
                                        ;     Parent Loop BB6_751 Depth=2
                                        ;       Parent Loop BB6_754 Depth=3
                                        ; =>      This Loop Header: Depth=4
                                        ;           Child Loop BB6_855 Depth 5
	flat_load_b32 v43, v[8:9] th:TH_LOAD_NT
	s_mov_b64 s[16:17], 0
	s_mov_b32 s72, -1
.LBB6_855:                              ;   Parent Loop BB6_47 Depth=1
                                        ;     Parent Loop BB6_751 Depth=2
                                        ;       Parent Loop BB6_754 Depth=3
                                        ;         Parent Loop BB6_854 Depth=4
                                        ; =>        This Inner Loop Header: Depth=5
	s_cmp_eq_u32 s16, 1
	s_cselect_b32 vcc_lo, -1, 0
	s_cmp_eq_u32 s16, 0
	s_wait_xcnt 0x0
	v_dual_cndmask_b32 v5, v11, v41 :: v_dual_cndmask_b32 v4, v10, v40
	s_cselect_b32 s13, -1, 0
	s_and_b32 s14, exec_lo, s72
	s_mov_b64 s[16:17], 1
	s_mov_b32 s72, 0
	v_add_nc_u64_e32 v[22:23], 0x80, v[4:5]
	s_wait_loadcnt_dscnt 0x0
	flat_store_b32 v[4:5], v43 th:TH_STORE_NT
	v_dual_cndmask_b32 v41, v41, v23 :: v_dual_cndmask_b32 v40, v40, v22
	v_dual_cndmask_b32 v11, v11, v23, s13 :: v_dual_cndmask_b32 v10, v10, v22, s13
	s_mov_b32 vcc_lo, s14
	s_cbranch_vccnz .LBB6_855
; %bb.856:                              ;   in Loop: Header=BB6_854 Depth=4
	v_sub_nc_u32_e32 v42, v42, v68
	s_delay_alu instid0(VALU_DEP_2)
	v_add_nc_u64_e32 v[10:11], v[10:11], v[96:97]
	v_add_nc_u64_e32 v[40:41], v[40:41], v[96:97]
	s_wait_xcnt 0x1
	v_add_nc_u64_e32 v[8:9], v[100:101], v[8:9]
	v_cmp_gt_i32_e32 vcc_lo, 4, v42
	s_or_b32 s43, vcc_lo, s43
	s_wait_xcnt 0x0
	s_and_not1_b32 exec_lo, exec_lo, s43
	s_cbranch_execnz .LBB6_854
.LBB6_857:                              ;   in Loop: Header=BB6_754 Depth=3
	s_or_b32 exec_lo, exec_lo, s15
	s_mov_b32 s13, 0
.LBB6_858:                              ;   in Loop: Header=BB6_754 Depth=3
	s_delay_alu instid0(SALU_CYCLE_1)
	s_and_b32 vcc_lo, exec_lo, s13
	s_cbranch_vccz .LBB6_885
; %bb.859:                              ;   in Loop: Header=BB6_754 Depth=3
	s_mov_b32 s13, -1
	s_and_saveexec_b32 s14, s10
	s_cbranch_execz .LBB6_861
; %bb.860:                              ;   in Loop: Header=BB6_754 Depth=3
	ds_load_b32 v4, v0 offset:720
	s_wait_dscnt 0x0
	v_and_b32_e32 v4, 15, v4
	s_delay_alu instid0(VALU_DEP_1)
	v_cmp_eq_u32_e32 vcc_lo, 0, v4
	s_or_not1_b32 s13, vcc_lo, exec_lo
.LBB6_861:                              ;   in Loop: Header=BB6_754 Depth=3
	s_or_b32 exec_lo, exec_lo, s14
	s_and_saveexec_b32 s14, s7
	s_cbranch_execz .LBB6_863
; %bb.862:                              ;   in Loop: Header=BB6_754 Depth=3
	ds_load_b32 v4, v0 offset:784
	s_wait_dscnt 0x0
	v_and_b32_e32 v4, 15, v4
	s_delay_alu instid0(VALU_DEP_1) | instskip(SKIP_3) | instid1(SALU_CYCLE_1)
	v_cmp_eq_u32_e32 vcc_lo, 0, v4
	s_and_b32 s15, s13, vcc_lo
	s_and_not1_b32 s13, s13, exec_lo
	s_and_b32 s15, s15, exec_lo
	s_or_b32 s13, s13, s15
.LBB6_863:                              ;   in Loop: Header=BB6_754 Depth=3
	s_or_b32 exec_lo, exec_lo, s14
	s_xor_b32 s13, s13, -1
	v_mov_b32_e32 v42, 0
	v_cndmask_b32_e64 v4, 0, 1, s13
	s_mov_b32 s15, -1
	s_delay_alu instid0(VALU_DEP_1)
	v_cmp_ne_u32_e32 vcc_lo, 0, v4
	s_cbranch_vccz .LBB6_865
; %bb.864:                              ;   in Loop: Header=BB6_754 Depth=3
	v_mov_b32_e32 v43, v0
	s_and_saveexec_b32 s13, s15
	s_cbranch_execnz .LBB6_876
	s_branch .LBB6_884
.LBB6_865:                              ;   in Loop: Header=BB6_754 Depth=3
	v_ashrrev_i32_e32 v4, 31, v15
	s_mov_b32 s13, exec_lo
	s_delay_alu instid0(VALU_DEP_1) | instskip(NEXT) | instid1(VALU_DEP_1)
	v_lshrrev_b32_e32 v4, 20, v4
	v_add_nc_u32_e32 v4, v15, v4
	s_delay_alu instid0(VALU_DEP_1) | instskip(NEXT) | instid1(VALU_DEP_1)
	v_ashrrev_i32_e32 v41, 12, v4
	v_sub_nc_u32_e32 v40, v41, v88
	s_delay_alu instid0(VALU_DEP_1)
	v_cmpx_lt_i32_e32 0, v40
	s_cbranch_execz .LBB6_869
; %bb.866:                              ;   in Loop: Header=BB6_754 Depth=3
	v_mov_b64_e32 v[8:9], v[118:119]
	v_mov_b64_e32 v[10:11], v[18:19]
	s_mov_b32 s14, 0
.LBB6_867:                              ;   Parent Loop BB6_47 Depth=1
                                        ;     Parent Loop BB6_751 Depth=2
                                        ;       Parent Loop BB6_754 Depth=3
                                        ; =>      This Inner Loop Header: Depth=4
	s_delay_alu instid0(VALU_DEP_1)
	v_add_nc_u64_e32 v[4:5], v[82:83], v[10:11]
	v_sub_nc_u32_e32 v40, v40, v48
	v_add_nc_u64_e32 v[10:11], v[10:11], v[54:55]
	s_clause 0x7
	global_load_b128 v[22:25], v[4:5], off th:TH_LOAD_NT
	global_load_b128 v[50:53], v[4:5], off offset:512 th:TH_LOAD_NT
	global_load_b128 v[42:45], v[4:5], off offset:1024 th:TH_LOAD_NT
	;; [unrolled: 1-line block ×7, first 2 shown]
	s_wait_xcnt 0x0
	v_add_nc_u64_e32 v[4:5], v[82:83], v[8:9]
	v_add_nc_u64_e32 v[8:9], v[8:9], v[54:55]
	v_cmp_gt_i32_e32 vcc_lo, 1, v40
	s_wait_loadcnt 0x7
	global_store_b128 v[4:5], v[22:25], off th:TH_STORE_NT
	s_wait_loadcnt 0x6
	global_store_b128 v[4:5], v[50:53], off offset:512 th:TH_STORE_NT
	s_wait_loadcnt 0x5
	global_store_b128 v[4:5], v[42:45], off offset:1024 th:TH_STORE_NT
	;; [unrolled: 2-line block ×7, first 2 shown]
	s_or_b32 s14, vcc_lo, s14
	s_wait_xcnt 0x0
	s_and_not1_b32 exec_lo, exec_lo, s14
	s_cbranch_execnz .LBB6_867
; %bb.868:                              ;   in Loop: Header=BB6_754 Depth=3
	s_or_b32 exec_lo, exec_lo, s14
.LBB6_869:                              ;   in Loop: Header=BB6_754 Depth=3
	s_delay_alu instid0(SALU_CYCLE_1) | instskip(SKIP_3) | instid1(VALU_DEP_1)
	s_or_b32 exec_lo, exec_lo, s13
	v_dual_lshlrev_b32 v10, 12, v41 :: v_dual_mov_b32 v42, 0
	s_mov_b32 s15, 0
	s_mov_b32 s14, exec_lo
                                        ; implicit-def: $vgpr43
	v_cmpx_ne_u32_e64 v15, v10
	s_cbranch_execz .LBB6_875
; %bb.870:                              ;   in Loop: Header=BB6_754 Depth=3
	v_dual_lshlrev_b32 v4, 5, v40 :: v_dual_sub_nc_u32 v9, v15, v10
	s_mov_b32 s15, exec_lo
	s_delay_alu instid0(VALU_DEP_1) | instskip(NEXT) | instid1(VALU_DEP_1)
	v_dual_sub_nc_u32 v4, v124, v4 :: v_dual_ashrrev_i32 v8, 31, v9
	v_ashrrev_i32_e32 v5, 31, v4
	s_delay_alu instid0(VALU_DEP_1) | instskip(NEXT) | instid1(VALU_DEP_1)
	v_dual_lshrrev_b32 v8, 23, v8 :: v_dual_lshrrev_b32 v5, 27, v5
	v_add_nc_u32_e32 v5, v4, v5
	s_delay_alu instid0(VALU_DEP_1) | instskip(NEXT) | instid1(VALU_DEP_1)
	v_and_b32_e32 v11, 0xffffffe0, v5
	v_dual_add_nc_u32 v8, v9, v8 :: v_dual_sub_nc_u32 v11, v4, v11
	s_delay_alu instid0(VALU_DEP_1) | instskip(SKIP_1) | instid1(VALU_DEP_2)
	v_and_b32_e32 v40, 0xfffffe00, v8
	v_dual_ashrrev_i32 v4, 5, v5 :: v_dual_ashrrev_i32 v22, 9, v8
	v_dual_lshlrev_b32 v5, 4, v11 :: v_dual_sub_nc_u32 v41, v9, v40
	s_delay_alu instid0(VALU_DEP_1) | instskip(NEXT) | instid1(VALU_DEP_2)
	v_lshl_add_u32 v8, v4, 9, v5
	v_cmp_lt_i32_e32 vcc_lo, 15, v41
	s_delay_alu instid0(VALU_DEP_2) | instskip(SKIP_1) | instid1(VALU_DEP_1)
	v_sub_nc_u32_e32 v43, v9, v8
	v_add_co_ci_u32_e64 v5, null, 0, v22, vcc_lo
	v_sub_nc_u32_e32 v42, v5, v4
	s_delay_alu instid0(VALU_DEP_3)
	v_cmpx_lt_i32_e32 15, v43
	s_cbranch_execz .LBB6_874
; %bb.871:                              ;   in Loop: Header=BB6_754 Depth=3
	v_add_nc_u32_e32 v8, v8, v10
	s_mov_b32 s16, 0
	s_delay_alu instid0(VALU_DEP_1)
	v_ashrrev_i32_e32 v9, 31, v8
.LBB6_872:                              ;   Parent Loop BB6_47 Depth=1
                                        ;     Parent Loop BB6_751 Depth=2
                                        ;       Parent Loop BB6_754 Depth=3
                                        ; =>      This Inner Loop Header: Depth=4
	s_delay_alu instid0(VALU_DEP_1) | instskip(SKIP_2) | instid1(VALU_DEP_2)
	v_add_nc_u64_e32 v[4:5], v[18:19], v[8:9]
	v_sub_nc_u32_e32 v43, v43, v64
	v_sub_nc_u32_e32 v42, v42, v48
	v_cmp_gt_i32_e64 s13, 16, v43
	global_load_b128 v[22:25], v[4:5], off th:TH_LOAD_NT
	s_wait_xcnt 0x0
	v_add_nc_u64_e32 v[4:5], v[118:119], v[8:9]
	v_add_nc_u64_e32 v[8:9], v[8:9], v[64:65]
	s_or_b32 s16, s13, s16
	s_wait_loadcnt 0x0
	global_store_b128 v[4:5], v[22:25], off th:TH_STORE_NT
	s_wait_xcnt 0x0
	s_and_not1_b32 exec_lo, exec_lo, s16
	s_cbranch_execnz .LBB6_872
; %bb.873:                              ;   in Loop: Header=BB6_754 Depth=3
	s_or_b32 exec_lo, exec_lo, s16
.LBB6_874:                              ;   in Loop: Header=BB6_754 Depth=3
	s_delay_alu instid0(SALU_CYCLE_1) | instskip(NEXT) | instid1(VALU_DEP_2)
	s_or_b32 exec_lo, exec_lo, s15
	v_cmp_lt_i32_e64 s13, 0, v42
	s_delay_alu instid0(VALU_DEP_1) | instskip(NEXT) | instid1(VALU_DEP_1)
	v_dual_cndmask_b32 v8, 0, v48, s13 :: v_dual_bitop2_b32 v4, 12, v15 bitop3:0x40
	v_dual_sub_nc_u32 v5, v41, v4 :: v_dual_cndmask_b32 v15, v41, v4, vcc_lo
	s_delay_alu instid0(VALU_DEP_1) | instskip(NEXT) | instid1(VALU_DEP_2)
	v_dual_cndmask_b32 v4, 0, v5 :: v_dual_sub_nc_u32 v5, v8, v42
	v_cmp_ne_u32_e32 vcc_lo, 0, v15
	s_delay_alu instid0(VALU_DEP_2) | instskip(NEXT) | instid1(VALU_DEP_3)
	v_add3_u32 v42, v40, v10, v4
	v_lshl_add_u32 v43, v5, 5, v11
	s_and_b32 s15, vcc_lo, exec_lo
.LBB6_875:                              ;   in Loop: Header=BB6_754 Depth=3
	s_or_b32 exec_lo, exec_lo, s14
	s_and_saveexec_b32 s13, s15
	s_cbranch_execz .LBB6_884
.LBB6_876:                              ;   in Loop: Header=BB6_754 Depth=3
	v_ashrrev_i32_e32 v5, 31, v15
	v_ashrrev_i32_e32 v4, 31, v43
	s_mov_b32 s14, exec_lo
	s_delay_alu instid0(VALU_DEP_1) | instskip(NEXT) | instid1(VALU_DEP_1)
	v_dual_lshrrev_b32 v5, 22, v5 :: v_dual_lshrrev_b32 v4, 27, v4
	v_add_nc_u32_e32 v8, v43, v4
	s_delay_alu instid0(VALU_DEP_2) | instskip(NEXT) | instid1(VALU_DEP_1)
	v_add_nc_u32_e32 v4, v15, v5
	v_ashrrev_i32_e32 v46, 10, v4
	s_delay_alu instid0(VALU_DEP_3) | instskip(NEXT) | instid1(VALU_DEP_1)
	v_ashrrev_i32_e32 v44, 5, v8
	v_sub_nc_u32_e32 v45, v46, v44
	s_delay_alu instid0(VALU_DEP_1)
	v_cmpx_lt_i32_e32 0, v45
	s_cbranch_execz .LBB6_880
; %bb.877:                              ;   in Loop: Header=BB6_754 Depth=3
	v_and_b32_e32 v4, 0x3fffffe0, v8
	v_lshlrev_b32_e32 v5, 10, v44
	v_mov_b64_e32 v[10:11], v[118:119]
	v_mov_b64_e32 v[40:41], v[18:19]
	s_mov_b32 s15, 0
	v_sub_nc_u32_e32 v4, v43, v4
	s_delay_alu instid0(VALU_DEP_1) | instskip(NEXT) | instid1(VALU_DEP_1)
	v_lshlrev_b32_e32 v4, 2, v4
	v_add3_u32 v8, v4, v42, v5
	s_delay_alu instid0(VALU_DEP_1)
	v_ashrrev_i32_e32 v9, 31, v8
.LBB6_878:                              ;   Parent Loop BB6_47 Depth=1
                                        ;     Parent Loop BB6_751 Depth=2
                                        ;       Parent Loop BB6_754 Depth=3
                                        ; =>      This Inner Loop Header: Depth=4
	s_delay_alu instid0(VALU_DEP_1)
	v_add_nc_u64_e32 v[4:5], v[8:9], v[40:41]
	v_sub_nc_u32_e32 v45, v45, v48
	v_add_nc_u64_e32 v[40:41], v[40:41], v[66:67]
	s_clause 0x7
	flat_load_b32 v22, v[4:5] th:TH_LOAD_NT
	flat_load_b32 v23, v[4:5] offset:128 th:TH_LOAD_NT
	flat_load_b32 v24, v[4:5] offset:256 th:TH_LOAD_NT
	;; [unrolled: 1-line block ×7, first 2 shown]
	s_wait_xcnt 0x0
	v_add_nc_u64_e32 v[4:5], v[8:9], v[10:11]
	v_add_nc_u64_e32 v[10:11], v[10:11], v[66:67]
	v_cmp_gt_i32_e32 vcc_lo, 1, v45
	s_wait_loadcnt_dscnt 0x707
	flat_store_b32 v[4:5], v22 th:TH_STORE_NT
	s_wait_loadcnt_dscnt 0x607
	flat_store_b32 v[4:5], v23 offset:128 th:TH_STORE_NT
	s_wait_loadcnt_dscnt 0x507
	flat_store_b32 v[4:5], v24 offset:256 th:TH_STORE_NT
	;; [unrolled: 2-line block ×7, first 2 shown]
	s_or_b32 s15, vcc_lo, s15
	s_wait_xcnt 0x0
	s_and_not1_b32 exec_lo, exec_lo, s15
	s_cbranch_execnz .LBB6_878
; %bb.879:                              ;   in Loop: Header=BB6_754 Depth=3
	s_or_b32 exec_lo, exec_lo, s15
.LBB6_880:                              ;   in Loop: Header=BB6_754 Depth=3
	s_delay_alu instid0(SALU_CYCLE_1) | instskip(SKIP_1) | instid1(VALU_DEP_1)
	s_or_b32 exec_lo, exec_lo, s14
	v_lshlrev_b32_e32 v8, 10, v46
	v_cmp_ne_u32_e32 vcc_lo, v15, v8
	s_and_b32 exec_lo, exec_lo, vcc_lo
	s_cbranch_execz .LBB6_884
; %bb.881:                              ;   in Loop: Header=BB6_754 Depth=3
	v_dual_lshlrev_b32 v4, 5, v44 :: v_dual_lshlrev_b32 v5, 5, v45
	s_delay_alu instid0(VALU_DEP_1) | instskip(NEXT) | instid1(VALU_DEP_1)
	v_sub_nc_u32_e32 v4, v43, v4
	v_sub_nc_u32_e32 v4, v4, v5
	s_delay_alu instid0(VALU_DEP_1) | instskip(NEXT) | instid1(VALU_DEP_1)
	v_ashrrev_i32_e32 v5, 31, v4
	v_lshrrev_b32_e32 v5, 27, v5
	s_delay_alu instid0(VALU_DEP_1) | instskip(NEXT) | instid1(VALU_DEP_1)
	v_add_nc_u32_e32 v5, v4, v5
	v_and_b32_e32 v9, 0x3fffffe0, v5
	v_lshlrev_b32_e32 v5, 2, v5
	s_delay_alu instid0(VALU_DEP_2) | instskip(NEXT) | instid1(VALU_DEP_2)
	v_sub_nc_u32_e32 v4, v4, v9
	v_and_b32_e32 v5, 0xffffff80, v5
	s_delay_alu instid0(VALU_DEP_2) | instskip(NEXT) | instid1(VALU_DEP_1)
	v_lshlrev_b32_e32 v4, 2, v4
	v_add3_u32 v8, v5, v4, v8
	s_delay_alu instid0(VALU_DEP_1) | instskip(NEXT) | instid1(VALU_DEP_1)
	v_sub_nc_u32_e32 v10, v15, v8
	v_cmp_lt_i32_e32 vcc_lo, 3, v10
	s_and_b32 exec_lo, exec_lo, vcc_lo
	s_cbranch_execz .LBB6_884
; %bb.882:                              ;   in Loop: Header=BB6_754 Depth=3
	v_add_nc_u32_e32 v8, v8, v42
	s_mov_b32 s14, 0
	s_delay_alu instid0(VALU_DEP_1)
	v_ashrrev_i32_e32 v9, 31, v8
.LBB6_883:                              ;   Parent Loop BB6_47 Depth=1
                                        ;     Parent Loop BB6_751 Depth=2
                                        ;       Parent Loop BB6_754 Depth=3
                                        ; =>      This Inner Loop Header: Depth=4
	s_delay_alu instid0(VALU_DEP_1) | instskip(SKIP_1) | instid1(VALU_DEP_1)
	v_add_nc_u64_e32 v[4:5], v[18:19], v[8:9]
	v_sub_nc_u32_e32 v10, v10, v68
	v_cmp_gt_i32_e32 vcc_lo, 4, v10
	flat_load_b32 v11, v[4:5] th:TH_LOAD_NT
	s_wait_xcnt 0x0
	v_add_nc_u64_e32 v[4:5], v[118:119], v[8:9]
	v_add_nc_u64_e32 v[8:9], v[8:9], v[68:69]
	s_or_b32 s14, vcc_lo, s14
	s_wait_loadcnt_dscnt 0x0
	flat_store_b32 v[4:5], v11 th:TH_STORE_NT
	s_wait_xcnt 0x0
	s_and_not1_b32 exec_lo, exec_lo, s14
	s_cbranch_execnz .LBB6_883
.LBB6_884:                              ;   in Loop: Header=BB6_754 Depth=3
	s_or_b32 exec_lo, exec_lo, s13
.LBB6_885:                              ;   in Loop: Header=BB6_754 Depth=3
	v_cmp_lt_i32_e64 s13, 0, v13
	s_and_saveexec_b32 s14, s2
	s_cbranch_execz .LBB6_830
.LBB6_886:                              ;   in Loop: Header=BB6_754 Depth=3
	s_and_saveexec_b32 s15, s3
	s_delay_alu instid0(SALU_CYCLE_1)
	s_xor_b32 s15, exec_lo, s15
	s_cbranch_execz .LBB6_901
; %bb.887:                              ;   in Loop: Header=BB6_754 Depth=3
	s_and_saveexec_b32 s16, s6
	s_cbranch_execz .LBB6_900
; %bb.888:                              ;   in Loop: Header=BB6_754 Depth=3
	s_mov_b32 s43, exec_lo
	s_mov_b32 s17, exec_lo
	v_mbcnt_lo_u32_b32 v4, s43, 0
	global_wb scope:SCOPE_DEV
	s_wait_storecnt 0x0
	s_wait_loadcnt_dscnt 0x0
	global_inv scope:SCOPE_DEV
	v_cmpx_eq_u32_e32 0, v4
	s_cbranch_execz .LBB6_890
; %bb.889:                              ;   in Loop: Header=BB6_754 Depth=3
	s_bcnt1_i32_b32 s43, s43
	s_delay_alu instid0(SALU_CYCLE_1)
	v_dual_mov_b32 v5, v2 :: v_dual_mov_b32 v4, s43
	s_wait_loadcnt 0x0
	ds_add_u64 v0, v[4:5]
	s_trap 2
.LBB6_890:                              ;   in Loop: Header=BB6_754 Depth=3
	s_or_b32 exec_lo, exec_lo, s17
	s_trap 2
	ds_load_b64 v[4:5], v0
	s_wait_dscnt 0x0
	v_add_nc_u64_e32 v[36:37], v[36:37], v[48:49]
	s_mov_b32 s17, exec_lo
	s_delay_alu instid0(VALU_DEP_1)
	v_cmpx_lt_u64_e64 v[4:5], v[36:37]
	s_cbranch_execz .LBB6_899
; %bb.891:                              ;   in Loop: Header=BB6_754 Depth=3
	s_mov_b32 s43, 0
	s_mov_b32 s74, 0
                                        ; implicit-def: $sgpr72
                                        ; implicit-def: $sgpr73
	s_branch .LBB6_893
.LBB6_892:                              ;   in Loop: Header=BB6_893 Depth=4
	s_or_b32 exec_lo, exec_lo, s76
	s_delay_alu instid0(SALU_CYCLE_1) | instskip(NEXT) | instid1(SALU_CYCLE_1)
	s_and_b32 s75, exec_lo, s77
	s_or_b32 s43, s75, s43
	s_and_not1_b32 s72, s72, exec_lo
	s_and_b32 s75, s73, exec_lo
	s_delay_alu instid0(SALU_CYCLE_1)
	s_or_b32 s72, s72, s75
	s_and_not1_b32 exec_lo, exec_lo, s43
	s_cbranch_execz .LBB6_897
.LBB6_893:                              ;   Parent Loop BB6_47 Depth=1
                                        ;     Parent Loop BB6_751 Depth=2
                                        ;       Parent Loop BB6_754 Depth=3
                                        ; =>      This Inner Loop Header: Depth=4
	s_add_co_i32 s74, s74, 1
	s_delay_alu instid0(SALU_CYCLE_1) | instskip(SKIP_1) | instid1(SALU_CYCLE_1)
	s_cmp_lg_u32 s74, 0x2710
	s_cselect_b32 s75, -1, 0
	s_and_b32 vcc_lo, exec_lo, s75
	s_cbranch_vccz .LBB6_895
; %bb.894:                              ;   in Loop: Header=BB6_893 Depth=4
	s_mov_b32 s77, -1
	s_or_b32 s73, s73, exec_lo
	s_and_saveexec_b32 s76, s75
	s_cbranch_execz .LBB6_892
	s_branch .LBB6_896
.LBB6_895:                              ;   in Loop: Header=BB6_893 Depth=4
	s_trap 2
	ds_load_b64 v[4:5], v0
	s_and_not1_b32 s75, s75, exec_lo
	s_mov_b32 s74, 0
	s_wait_loadcnt_dscnt 0x0
	flat_load_b32 v4, v[4:5] scope:SCOPE_SYS
	s_wait_loadcnt_dscnt 0x0
	global_inv scope:SCOPE_SYS
	v_cmp_eq_u32_e32 vcc_lo, 0, v4
	s_and_b32 s76, vcc_lo, exec_lo
	s_delay_alu instid0(SALU_CYCLE_1)
	s_or_b32 s75, s75, s76
	s_mov_b32 s77, -1
	s_or_b32 s73, s73, exec_lo
	s_and_saveexec_b32 s76, s75
	s_cbranch_execz .LBB6_892
.LBB6_896:                              ;   in Loop: Header=BB6_893 Depth=4
	s_sleep 1
	s_trap 2
	ds_load_b64 v[4:5], v0
	s_wait_dscnt 0x0
	s_and_not1_b32 s73, s73, exec_lo
	v_cmp_ge_u64_e32 vcc_lo, v[4:5], v[36:37]
	s_or_not1_b32 s77, vcc_lo, exec_lo
	s_branch .LBB6_892
.LBB6_897:                              ;   in Loop: Header=BB6_754 Depth=3
	s_or_b32 exec_lo, exec_lo, s43
	s_and_saveexec_b32 s43, s72
	s_delay_alu instid0(SALU_CYCLE_1)
	s_xor_b32 s43, exec_lo, s43
	s_cbranch_execz .LBB6_899
; %bb.898:                              ;   in Loop: Header=BB6_754 Depth=3
	ds_store_b32 v0, v89
	s_trap 2
.LBB6_899:                              ;   in Loop: Header=BB6_754 Depth=3
	s_or_b32 exec_lo, exec_lo, s17
	;;#ASMSTART
	s_wakeup
	;;#ASMEND
.LBB6_900:                              ;   in Loop: Header=BB6_754 Depth=3
	s_or_b32 exec_lo, exec_lo, s16
.LBB6_901:                              ;   in Loop: Header=BB6_754 Depth=3
	s_and_not1_saveexec_b32 s15, s15
	s_cbranch_execz .LBB6_903
; %bb.902:                              ;   in Loop: Header=BB6_754 Depth=3
	global_wb scope:SCOPE_DEV
	s_wait_storecnt 0x0
	s_wait_loadcnt_dscnt 0x0
	global_inv scope:SCOPE_DEV
	s_barrier_signal -1
	s_barrier_wait -1
.LBB6_903:                              ;   in Loop: Header=BB6_754 Depth=3
	s_or_b32 exec_lo, exec_lo, s15
	s_delay_alu instid0(SALU_CYCLE_1) | instskip(SKIP_1) | instid1(SALU_CYCLE_1)
	s_or_b32 exec_lo, exec_lo, s14
                                        ; implicit-def: $vgpr8
	s_and_saveexec_b32 s14, s12
	s_xor_b32 s14, exec_lo, s14
	s_cbranch_execnz .LBB6_831
.LBB6_904:                              ;   in Loop: Header=BB6_754 Depth=3
	s_and_not1_saveexec_b32 s13, s14
	s_cbranch_execz .LBB6_923
.LBB6_905:                              ;   in Loop: Header=BB6_754 Depth=3
	s_and_saveexec_b32 s14, s3
	s_delay_alu instid0(SALU_CYCLE_1)
	s_xor_b32 s14, exec_lo, s14
	s_cbranch_execz .LBB6_920
; %bb.906:                              ;   in Loop: Header=BB6_754 Depth=3
	s_and_saveexec_b32 s15, s6
	s_cbranch_execz .LBB6_919
; %bb.907:                              ;   in Loop: Header=BB6_754 Depth=3
	s_mov_b32 s17, exec_lo
	s_mov_b32 s16, exec_lo
	v_mbcnt_lo_u32_b32 v4, s17, 0
	;;#ASMSTART
	s_waitcnt lgkmcnt(0) vmcnt(0)
	;;#ASMEND
	s_delay_alu instid0(VALU_DEP_1)
	v_cmpx_eq_u32_e32 0, v4
	s_cbranch_execz .LBB6_909
; %bb.908:                              ;   in Loop: Header=BB6_754 Depth=3
	s_bcnt1_i32_b32 s17, s17
	s_delay_alu instid0(SALU_CYCLE_1)
	v_dual_mov_b32 v5, v2 :: v_dual_mov_b32 v4, s17
	s_wait_storecnt 0x0
	s_wait_loadcnt_dscnt 0x0
	ds_add_u64 v0, v[4:5]
	s_trap 2
.LBB6_909:                              ;   in Loop: Header=BB6_754 Depth=3
	s_or_b32 exec_lo, exec_lo, s16
	s_trap 2
	ds_load_b64 v[4:5], v0
	s_wait_dscnt 0x0
	v_add_nc_u64_e32 v[36:37], v[36:37], v[48:49]
	s_mov_b32 s16, exec_lo
	s_delay_alu instid0(VALU_DEP_1)
	v_cmpx_lt_u64_e64 v[4:5], v[36:37]
	s_cbranch_execz .LBB6_918
; %bb.910:                              ;   in Loop: Header=BB6_754 Depth=3
	s_mov_b32 s17, 0
	s_mov_b32 s73, 0
                                        ; implicit-def: $sgpr43
                                        ; implicit-def: $sgpr72
	s_branch .LBB6_912
.LBB6_911:                              ;   in Loop: Header=BB6_912 Depth=4
	s_or_b32 exec_lo, exec_lo, s75
	s_delay_alu instid0(SALU_CYCLE_1) | instskip(NEXT) | instid1(SALU_CYCLE_1)
	s_and_b32 s74, exec_lo, s76
	s_or_b32 s17, s74, s17
	s_and_not1_b32 s43, s43, exec_lo
	s_and_b32 s74, s72, exec_lo
	s_delay_alu instid0(SALU_CYCLE_1)
	s_or_b32 s43, s43, s74
	s_and_not1_b32 exec_lo, exec_lo, s17
	s_cbranch_execz .LBB6_916
.LBB6_912:                              ;   Parent Loop BB6_47 Depth=1
                                        ;     Parent Loop BB6_751 Depth=2
                                        ;       Parent Loop BB6_754 Depth=3
                                        ; =>      This Inner Loop Header: Depth=4
	s_add_co_i32 s73, s73, 1
	s_delay_alu instid0(SALU_CYCLE_1) | instskip(SKIP_1) | instid1(SALU_CYCLE_1)
	s_cmp_lg_u32 s73, 0x2710
	s_cselect_b32 s74, -1, 0
	s_and_b32 vcc_lo, exec_lo, s74
	s_cbranch_vccz .LBB6_914
; %bb.913:                              ;   in Loop: Header=BB6_912 Depth=4
	s_mov_b32 s76, -1
	s_or_b32 s72, s72, exec_lo
	s_and_saveexec_b32 s75, s74
	s_cbranch_execz .LBB6_911
	s_branch .LBB6_915
.LBB6_914:                              ;   in Loop: Header=BB6_912 Depth=4
	s_trap 2
	ds_load_b64 v[4:5], v0
	s_and_not1_b32 s74, s74, exec_lo
	s_mov_b32 s73, 0
	s_wait_storecnt 0x0
	s_wait_loadcnt_dscnt 0x0
	flat_load_b32 v4, v[4:5] scope:SCOPE_SYS
	s_wait_loadcnt_dscnt 0x0
	global_inv scope:SCOPE_SYS
	v_cmp_eq_u32_e32 vcc_lo, 0, v4
	s_and_b32 s75, vcc_lo, exec_lo
	s_delay_alu instid0(SALU_CYCLE_1)
	s_or_b32 s74, s74, s75
	s_mov_b32 s76, -1
	s_or_b32 s72, s72, exec_lo
	s_and_saveexec_b32 s75, s74
	s_cbranch_execz .LBB6_911
.LBB6_915:                              ;   in Loop: Header=BB6_912 Depth=4
	s_sleep 1
	s_trap 2
	ds_load_b64 v[4:5], v0
	s_wait_dscnt 0x0
	s_and_not1_b32 s72, s72, exec_lo
	v_cmp_ge_u64_e32 vcc_lo, v[4:5], v[36:37]
	s_or_not1_b32 s76, vcc_lo, exec_lo
	s_branch .LBB6_911
.LBB6_916:                              ;   in Loop: Header=BB6_754 Depth=3
	s_or_b32 exec_lo, exec_lo, s17
	s_and_saveexec_b32 s17, s43
	s_delay_alu instid0(SALU_CYCLE_1)
	s_xor_b32 s17, exec_lo, s17
	s_cbranch_execz .LBB6_918
; %bb.917:                              ;   in Loop: Header=BB6_754 Depth=3
	ds_store_b32 v0, v89
	s_trap 2
.LBB6_918:                              ;   in Loop: Header=BB6_754 Depth=3
	s_or_b32 exec_lo, exec_lo, s16
	;;#ASMSTART
	s_wakeup
	;;#ASMEND
.LBB6_919:                              ;   in Loop: Header=BB6_754 Depth=3
	s_or_b32 exec_lo, exec_lo, s15
.LBB6_920:                              ;   in Loop: Header=BB6_754 Depth=3
	s_and_not1_saveexec_b32 s14, s14
	s_cbranch_execz .LBB6_922
; %bb.921:                              ;   in Loop: Header=BB6_754 Depth=3
	;;#ASMSTART
	s_waitcnt lgkmcnt(0) vmcnt(0)
	;;#ASMEND
	s_barrier_signal -1
	s_barrier_wait -1
.LBB6_922:                              ;   in Loop: Header=BB6_754 Depth=3
	s_or_b32 exec_lo, exec_lo, s14
	v_and_b32_e32 v8, 16, v30
.LBB6_923:                              ;   in Loop: Header=BB6_754 Depth=3
	s_or_b32 exec_lo, exec_lo, s13
	s_delay_alu instid0(VALU_DEP_1) | instskip(SKIP_1) | instid1(SALU_CYCLE_1)
	v_cmp_ne_u32_e32 vcc_lo, 0, v8
	s_xor_b32 s13, s4, -1
	s_and_b32 s14, vcc_lo, s13
	s_delay_alu instid0(SALU_CYCLE_1)
	s_and_saveexec_b32 s13, s14
	s_cbranch_execz .LBB6_925
; %bb.924:                              ;   in Loop: Header=BB6_754 Depth=3
	global_wb scope:SCOPE_SYS
	s_wait_storecnt 0x0
	s_wait_loadcnt_dscnt 0x0
	flat_store_b32 v[34:35], v89 scope:SCOPE_SYS
.LBB6_925:                              ;   in Loop: Header=BB6_754 Depth=3
	s_wait_xcnt 0x0
	s_or_b32 exec_lo, exec_lo, s13
	v_and_b32_e32 v4, 48, v30
	s_mov_b32 s13, exec_lo
	s_delay_alu instid0(VALU_DEP_1)
	v_cmpx_ne_u32_e32 0, v4
	s_cbranch_execz .LBB6_753
; %bb.926:                              ;   in Loop: Header=BB6_754 Depth=3
	v_add_nc_u64_e32 v[112:113], 2, v[112:113]
	global_wb scope:SCOPE_SYS
	s_wait_storecnt 0x0
	s_wait_loadcnt_dscnt 0x0
	flat_store_b64 v[26:27], v[112:113] scope:SCOPE_SYS
	s_branch .LBB6_753
.LBB6_927:                              ;   in Loop: Header=BB6_751 Depth=2
	s_or_b32 exec_lo, exec_lo, s20
.LBB6_928:                              ;   in Loop: Header=BB6_751 Depth=2
	s_delay_alu instid0(SALU_CYCLE_1) | instskip(NEXT) | instid1(SALU_CYCLE_1)
	s_or_b32 exec_lo, exec_lo, s19
	s_mov_b32 s14, exec_lo
	v_cmpx_gt_i32_e32 2, v10
	s_cbranch_execz .LBB6_1004
; %bb.929:                              ;   in Loop: Header=BB6_751 Depth=2
	v_cmp_eq_u32_e64 s16, 0, v10
	s_mov_b32 s15, 0
	s_branch .LBB6_931
.LBB6_930:                              ;   in Loop: Header=BB6_931 Depth=3
	s_wait_xcnt 0x0
	s_or_b32 exec_lo, exec_lo, s13
	v_add_nc_u32_e32 v14, v12, v14
	s_mov_b32 s16, 0
	s_and_not1_b32 exec_lo, exec_lo, s15
	s_cbranch_execz .LBB6_1003
.LBB6_931:                              ;   Parent Loop BB6_47 Depth=1
                                        ;     Parent Loop BB6_751 Depth=2
                                        ; =>    This Loop Header: Depth=3
                                        ;         Child Loop BB6_937 Depth 4
                                        ;         Child Loop BB6_965 Depth 4
	;; [unrolled: 1-line block ×3, first 2 shown]
	s_delay_alu instid0(VALU_DEP_1) | instskip(SKIP_2) | instid1(VALU_DEP_2)
	v_sub_nc_u32_e32 v4, v3, v14
	v_and_b32_e32 v5, 12, v30
	s_mov_b32 s17, exec_lo
	v_min_i32_e32 v12, v12, v4
	s_delay_alu instid0(VALU_DEP_2)
	v_cmpx_ne_u32_e32 0, v5
	s_cbranch_execz .LBB6_957
; %bb.932:                              ;   in Loop: Header=BB6_931 Depth=3
	v_dual_mov_b32 v11, v2 :: v_dual_bitop2_b32 v10, 8, v30 bitop3:0x40
	v_add_nc_u64_e32 v[8:9], 2, v[112:113]
	s_mov_b32 s19, exec_lo
	s_wait_loadcnt_dscnt 0x1
	s_delay_alu instid0(VALU_DEP_2) | instskip(NEXT) | instid1(VALU_DEP_1)
	v_add_nc_u64_e32 v[4:5], v[38:39], v[10:11]
	v_cmpx_lt_u64_e64 v[4:5], v[8:9]
	s_cbranch_execz .LBB6_944
; %bb.933:                              ;   in Loop: Header=BB6_931 Depth=3
	v_and_b32_e32 v4, 64, v30
	s_mov_b32 s20, 0
	s_mov_b32 s72, 0
                                        ; implicit-def: $sgpr21
                                        ; implicit-def: $sgpr24
                                        ; implicit-def: $sgpr43
	s_delay_alu instid0(VALU_DEP_1)
	v_cmp_eq_u32_e32 vcc_lo, 0, v4
	s_branch .LBB6_937
.LBB6_934:                              ;   in Loop: Header=BB6_937 Depth=4
	s_wait_loadcnt_dscnt 0x0
	v_add_nc_u64_e32 v[4:5], v[38:39], v[10:11]
	s_or_b32 s75, s75, exec_lo
	s_delay_alu instid0(VALU_DEP_1)
	v_cmp_ge_u64_e64 s13, v[4:5], v[8:9]
	s_or_not1_b32 s74, s13, exec_lo
.LBB6_935:                              ;   in Loop: Header=BB6_937 Depth=4
	s_or_b32 exec_lo, exec_lo, s77
	s_delay_alu instid0(SALU_CYCLE_1)
	s_and_not1_b32 s13, s43, exec_lo
	s_and_b32 s43, s75, exec_lo
	s_and_not1_b32 s24, s24, exec_lo
	s_and_b32 s74, s74, exec_lo
	s_or_b32 s43, s13, s43
	s_or_b32 s24, s24, s74
.LBB6_936:                              ;   in Loop: Header=BB6_937 Depth=4
	s_or_b32 exec_lo, exec_lo, s73
	s_delay_alu instid0(SALU_CYCLE_1) | instskip(NEXT) | instid1(SALU_CYCLE_1)
	s_and_b32 s13, exec_lo, s24
	s_or_b32 s20, s13, s20
	s_and_not1_b32 s13, s21, exec_lo
	s_and_b32 s21, s43, exec_lo
	s_delay_alu instid0(SALU_CYCLE_1)
	s_or_b32 s21, s13, s21
	s_and_not1_b32 exec_lo, exec_lo, s20
	s_cbranch_execz .LBB6_941
.LBB6_937:                              ;   Parent Loop BB6_47 Depth=1
                                        ;     Parent Loop BB6_751 Depth=2
                                        ;       Parent Loop BB6_931 Depth=3
                                        ; =>      This Inner Loop Header: Depth=4
	s_sleep 1
	s_wait_loadcnt_dscnt 0x0
	flat_load_b64 v[38:39], v[26:27] scope:SCOPE_SYS
	s_or_b32 s43, s43, exec_lo
	s_or_b32 s24, s24, exec_lo
                                        ; implicit-def: $vgpr13
	s_wait_xcnt 0x0
	s_and_saveexec_b32 s73, vcc_lo
	s_cbranch_execz .LBB6_936
; %bb.938:                              ;   in Loop: Header=BB6_937 Depth=4
	s_cmp_lt_i32 s72, 0x270f
	s_mov_b32 s74, -1
	s_cselect_b32 s76, -1, 0
	s_cmp_gt_i32 s72, 0x270e
	s_cbranch_scc0 .LBB6_940
; %bb.939:                              ;   in Loop: Header=BB6_937 Depth=4
	s_trap 2
	ds_load_b64 v[4:5], v0
	s_and_not1_b32 s72, s76, exec_lo
	s_mov_b32 s75, 0
	s_wait_storecnt 0x0
	s_wait_loadcnt_dscnt 0x0
	flat_load_b32 v13, v[4:5] scope:SCOPE_SYS
	s_wait_loadcnt_dscnt 0x0
	global_inv scope:SCOPE_SYS
	v_cmp_eq_u32_e64 s13, 0, v13
	s_and_b32 s13, s13, exec_lo
	s_delay_alu instid0(SALU_CYCLE_1)
	s_or_b32 s76, s72, s13
	s_mov_b32 s72, 0
	s_and_saveexec_b32 s77, s76
	s_cbranch_execz .LBB6_935
	s_branch .LBB6_934
.LBB6_940:                              ;   in Loop: Header=BB6_937 Depth=4
	s_add_co_i32 s72, s72, 1
	s_mov_b32 s75, -1
                                        ; implicit-def: $vgpr13
	s_and_saveexec_b32 s77, s76
	s_cbranch_execz .LBB6_935
	s_branch .LBB6_934
.LBB6_941:                              ;   in Loop: Header=BB6_931 Depth=3
	s_or_b32 exec_lo, exec_lo, s20
	s_xor_b32 s13, s21, -1
	s_delay_alu instid0(SALU_CYCLE_1) | instskip(NEXT) | instid1(SALU_CYCLE_1)
	s_and_saveexec_b32 s20, s13
	s_xor_b32 s13, exec_lo, s20
	s_cbranch_execz .LBB6_943
; %bb.942:                              ;   in Loop: Header=BB6_931 Depth=3
	v_or_b32_e32 v30, 64, v30
	s_wait_storecnt 0x0
	s_wait_loadcnt_dscnt 0x0
	ds_store_b32 v0, v13
	s_trap 2
.LBB6_943:                              ;   in Loop: Header=BB6_931 Depth=3
	s_or_b32 exec_lo, exec_lo, s13
.LBB6_944:                              ;   in Loop: Header=BB6_931 Depth=3
	s_delay_alu instid0(SALU_CYCLE_1) | instskip(SKIP_3) | instid1(VALU_DEP_1)
	s_or_b32 exec_lo, exec_lo, s19
	v_and_b32_e32 v4, 0x108, v30
	s_mov_b32 s13, exec_lo
	;;#ASMSTART
	s_wakeup
	;;#ASMEND
                                        ; implicit-def: $vgpr16_vgpr17
	v_cmpx_ne_u32_e32 0x108, v4
	s_xor_b32 s13, exec_lo, s13
; %bb.945:                              ;   in Loop: Header=BB6_931 Depth=3
	v_dual_mov_b32 v17, v2 :: v_dual_bitop2_b32 v16, 7, v112 bitop3:0x40
                                        ; implicit-def: $vgpr112_vgpr113
; %bb.946:                              ;   in Loop: Header=BB6_931 Depth=3
	s_and_not1_saveexec_b32 s13, s13
	s_cbranch_execz .LBB6_948
; %bb.947:                              ;   in Loop: Header=BB6_931 Depth=3
	v_dual_mov_b32 v17, v2 :: v_dual_bitop2_b32 v16, 7, v112 bitop3:0x40
	v_ashrrev_i32_e32 v13, 31, v12
	s_delay_alu instid0(VALU_DEP_2) | instskip(NEXT) | instid1(VALU_DEP_2)
	v_mad_nc_u64_u32 v[4:5], v16, 24, v[6:7]
	v_lshlrev_b64_e32 v[18:19], 2, v[12:13]
	flat_store_b64 v[4:5], v[18:19] offset:8
.LBB6_948:                              ;   in Loop: Header=BB6_931 Depth=3
	s_wait_xcnt 0x0
	s_or_b32 exec_lo, exec_lo, s13
	v_and_b32_e32 v4, 0x100, v30
	s_mov_b32 s13, -1
	s_mov_b32 s19, exec_lo
                                        ; implicit-def: $vgpr18_vgpr19
	s_delay_alu instid0(VALU_DEP_1)
	v_cmpx_ne_u32_e32 0, v4
	s_cbranch_execz .LBB6_952
; %bb.949:                              ;   in Loop: Header=BB6_931 Depth=3
	v_mad_nc_u64_u32 v[112:113], v16, 24, v[6:7]
	s_mov_b32 s20, exec_lo
                                        ; implicit-def: $vgpr18_vgpr19
	s_delay_alu instid0(VALU_DEP_1)
	v_mad_u32 v113, v17, 24, v113
	flat_load_b32 v4, v[112:113]
	s_wait_loadcnt_dscnt 0x0
	v_cmp_ne_u32_e32 vcc_lo, 1, v4
	s_wait_xcnt 0x0
	v_cmpx_eq_u32_e32 1, v4
	s_cbranch_execz .LBB6_951
; %bb.950:                              ;   in Loop: Header=BB6_931 Depth=3
	flat_load_b32 v4, v[112:113] offset:4 scope:SCOPE_SYS
	s_wait_loadcnt_dscnt 0x0
	v_ashrrev_i32_e32 v5, 31, v4
	s_delay_alu instid0(VALU_DEP_1)
	v_lshrrev_b64 v[18:19], 2, v[4:5]
.LBB6_951:                              ;   in Loop: Header=BB6_931 Depth=3
	s_wait_xcnt 0x0
	s_or_b32 exec_lo, exec_lo, s20
	s_delay_alu instid0(SALU_CYCLE_1)
	s_or_not1_b32 s13, vcc_lo, exec_lo
.LBB6_952:                              ;   in Loop: Header=BB6_931 Depth=3
	s_or_b32 exec_lo, exec_lo, s19
	s_and_saveexec_b32 s19, s13
; %bb.953:                              ;   in Loop: Header=BB6_931 Depth=3
	v_mul_u64_e32 v[18:19], v[16:17], v[28:29]
; %bb.954:                              ;   in Loop: Header=BB6_931 Depth=3
	s_or_b32 exec_lo, exec_lo, s19
	v_cmp_eq_u32_e32 vcc_lo, 0, v10
	v_and_b32_e32 v11, 0x2000, v30
	s_delay_alu instid0(VALU_DEP_3) | instskip(SKIP_2) | instid1(VALU_DEP_1)
	v_lshl_add_u64 v[4:5], v[18:19], 2, v[32:33]
	s_mov_b32 s13, exec_lo
	v_cndmask_b32_e32 v10, 0xd0, v91, vcc_lo
	v_add_nc_u32_e32 v10, v0, v10
	ds_store_b64 v10, v[4:5] offset:584
	v_cmpx_ne_u32_e32 0, v11
	s_cbranch_execz .LBB6_956
; %bb.955:                              ;   in Loop: Header=BB6_931 Depth=3
	ds_load_b64 v[4:5], v0 offset:872
	s_wait_dscnt 0x0
	v_add_nc_u64_e32 v[4:5], 1, v[4:5]
	ds_store_b64 v0, v[4:5] offset:872
.LBB6_956:                              ;   in Loop: Header=BB6_931 Depth=3
	s_or_b32 exec_lo, exec_lo, s13
	v_mov_b64_e32 v[112:113], v[8:9]
.LBB6_957:                              ;   in Loop: Header=BB6_931 Depth=3
	s_or_b32 exec_lo, exec_lo, s17
	s_xor_b32 s13, s16, -1
	s_delay_alu instid0(SALU_CYCLE_1) | instskip(NEXT) | instid1(SALU_CYCLE_1)
	s_and_b32 s13, exec_lo, s13
	s_or_b32 s15, s13, s15
	s_and_saveexec_b32 s13, s2
	s_cbranch_execz .LBB6_976
; %bb.958:                              ;   in Loop: Header=BB6_931 Depth=3
	s_and_saveexec_b32 s16, s3
	s_delay_alu instid0(SALU_CYCLE_1)
	s_xor_b32 s16, exec_lo, s16
	s_cbranch_execz .LBB6_973
; %bb.959:                              ;   in Loop: Header=BB6_931 Depth=3
	s_and_saveexec_b32 s17, s6
	s_cbranch_execz .LBB6_972
; %bb.960:                              ;   in Loop: Header=BB6_931 Depth=3
	s_mov_b32 s20, exec_lo
	s_mov_b32 s19, exec_lo
	v_mbcnt_lo_u32_b32 v4, s20, 0
	global_wb scope:SCOPE_DEV
	s_wait_storecnt 0x0
	s_wait_loadcnt_dscnt 0x0
	global_inv scope:SCOPE_DEV
	v_cmpx_eq_u32_e32 0, v4
	s_cbranch_execz .LBB6_962
; %bb.961:                              ;   in Loop: Header=BB6_931 Depth=3
	s_bcnt1_i32_b32 s20, s20
	s_delay_alu instid0(SALU_CYCLE_1)
	v_dual_mov_b32 v5, v2 :: v_dual_mov_b32 v4, s20
	s_wait_loadcnt 0x0
	ds_add_u64 v0, v[4:5]
	s_trap 2
.LBB6_962:                              ;   in Loop: Header=BB6_931 Depth=3
	s_or_b32 exec_lo, exec_lo, s19
	s_trap 2
	ds_load_b64 v[4:5], v0
	s_wait_dscnt 0x0
	v_add_nc_u64_e32 v[36:37], v[36:37], v[48:49]
	s_mov_b32 s19, exec_lo
	s_delay_alu instid0(VALU_DEP_1)
	v_cmpx_lt_u64_e64 v[4:5], v[36:37]
	s_cbranch_execz .LBB6_971
; %bb.963:                              ;   in Loop: Header=BB6_931 Depth=3
	s_mov_b32 s20, 0
	s_mov_b32 s43, 0
                                        ; implicit-def: $sgpr21
                                        ; implicit-def: $sgpr24
	s_branch .LBB6_965
.LBB6_964:                              ;   in Loop: Header=BB6_965 Depth=4
	s_or_b32 exec_lo, exec_lo, s73
	s_delay_alu instid0(SALU_CYCLE_1) | instskip(NEXT) | instid1(SALU_CYCLE_1)
	s_and_b32 s72, exec_lo, s74
	s_or_b32 s20, s72, s20
	s_and_not1_b32 s21, s21, exec_lo
	s_and_b32 s72, s24, exec_lo
	s_delay_alu instid0(SALU_CYCLE_1)
	s_or_b32 s21, s21, s72
	s_and_not1_b32 exec_lo, exec_lo, s20
	s_cbranch_execz .LBB6_969
.LBB6_965:                              ;   Parent Loop BB6_47 Depth=1
                                        ;     Parent Loop BB6_751 Depth=2
                                        ;       Parent Loop BB6_931 Depth=3
                                        ; =>      This Inner Loop Header: Depth=4
	s_add_co_i32 s43, s43, 1
	s_delay_alu instid0(SALU_CYCLE_1) | instskip(SKIP_1) | instid1(SALU_CYCLE_1)
	s_cmp_lg_u32 s43, 0x2710
	s_cselect_b32 s72, -1, 0
	s_and_b32 vcc_lo, exec_lo, s72
	s_cbranch_vccz .LBB6_967
; %bb.966:                              ;   in Loop: Header=BB6_965 Depth=4
	s_mov_b32 s74, -1
	s_or_b32 s24, s24, exec_lo
	s_and_saveexec_b32 s73, s72
	s_cbranch_execz .LBB6_964
	s_branch .LBB6_968
.LBB6_967:                              ;   in Loop: Header=BB6_965 Depth=4
	s_trap 2
	ds_load_b64 v[4:5], v0
	s_and_not1_b32 s72, s72, exec_lo
	s_mov_b32 s43, 0
	s_wait_loadcnt_dscnt 0x0
	flat_load_b32 v4, v[4:5] scope:SCOPE_SYS
	s_wait_loadcnt_dscnt 0x0
	global_inv scope:SCOPE_SYS
	v_cmp_eq_u32_e32 vcc_lo, 0, v4
	s_and_b32 s73, vcc_lo, exec_lo
	s_delay_alu instid0(SALU_CYCLE_1)
	s_or_b32 s72, s72, s73
	s_mov_b32 s74, -1
	s_or_b32 s24, s24, exec_lo
	s_and_saveexec_b32 s73, s72
	s_cbranch_execz .LBB6_964
.LBB6_968:                              ;   in Loop: Header=BB6_965 Depth=4
	s_sleep 1
	s_trap 2
	ds_load_b64 v[4:5], v0
	s_wait_dscnt 0x0
	s_and_not1_b32 s24, s24, exec_lo
	v_cmp_ge_u64_e32 vcc_lo, v[4:5], v[36:37]
	s_or_not1_b32 s74, vcc_lo, exec_lo
	s_branch .LBB6_964
.LBB6_969:                              ;   in Loop: Header=BB6_931 Depth=3
	s_or_b32 exec_lo, exec_lo, s20
	s_and_saveexec_b32 s20, s21
	s_delay_alu instid0(SALU_CYCLE_1)
	s_xor_b32 s20, exec_lo, s20
	s_cbranch_execz .LBB6_971
; %bb.970:                              ;   in Loop: Header=BB6_931 Depth=3
	ds_store_b32 v0, v89
	s_trap 2
.LBB6_971:                              ;   in Loop: Header=BB6_931 Depth=3
	s_or_b32 exec_lo, exec_lo, s19
	;;#ASMSTART
	s_wakeup
	;;#ASMEND
.LBB6_972:                              ;   in Loop: Header=BB6_931 Depth=3
	s_or_b32 exec_lo, exec_lo, s17
.LBB6_973:                              ;   in Loop: Header=BB6_931 Depth=3
	s_and_not1_saveexec_b32 s16, s16
	s_cbranch_execz .LBB6_975
; %bb.974:                              ;   in Loop: Header=BB6_931 Depth=3
	global_wb scope:SCOPE_DEV
	s_wait_storecnt 0x0
	s_wait_loadcnt_dscnt 0x0
	global_inv scope:SCOPE_DEV
	s_barrier_signal -1
	s_barrier_wait -1
.LBB6_975:                              ;   in Loop: Header=BB6_931 Depth=3
	s_or_b32 exec_lo, exec_lo, s16
.LBB6_976:                              ;   in Loop: Header=BB6_931 Depth=3
	s_delay_alu instid0(SALU_CYCLE_1) | instskip(SKIP_1) | instid1(SALU_CYCLE_1)
	s_or_b32 exec_lo, exec_lo, s13
                                        ; implicit-def: $vgpr8
	s_and_saveexec_b32 s13, s12
	s_xor_b32 s16, exec_lo, s13
	s_cbranch_execz .LBB6_980
; %bb.977:                              ;   in Loop: Header=BB6_931 Depth=3
	s_trap 2
	ds_load_b32 v4, v0
	v_cmp_lt_i32_e32 vcc_lo, 0, v12
	v_and_b32_e32 v8, 16, v30
	s_wait_dscnt 0x0
	v_readfirstlane_b32 s13, v4
	v_and_b32_e32 v4, 16, v30
	s_cmp_eq_u32 s13, 0
	s_delay_alu instid0(VALU_DEP_1) | instskip(SKIP_1) | instid1(SALU_CYCLE_1)
	v_cmp_ne_u32_e64 s13, 0, v4
	s_cselect_b32 s17, -1, 0
	s_and_b32 s17, vcc_lo, s17
	s_delay_alu instid0(SALU_CYCLE_1) | instskip(NEXT) | instid1(SALU_CYCLE_1)
	s_and_b32 s17, s13, s17
	s_and_saveexec_b32 s13, s17
	s_cbranch_execz .LBB6_979
; %bb.978:                              ;   in Loop: Header=BB6_931 Depth=3
	v_mov_b32_e32 v8, 1
	global_wb scope:SCOPE_SYS
	s_wait_loadcnt 0x0
	s_wait_storecnt 0x0
	global_inv scope:SCOPE_SYS
.LBB6_979:                              ;   in Loop: Header=BB6_931 Depth=3
	s_or_b32 exec_lo, exec_lo, s13
	s_and_not1_saveexec_b32 s13, s16
	s_cbranch_execz .LBB6_999
	s_branch .LBB6_981
.LBB6_980:                              ;   in Loop: Header=BB6_931 Depth=3
	s_and_not1_saveexec_b32 s13, s16
	s_cbranch_execz .LBB6_999
.LBB6_981:                              ;   in Loop: Header=BB6_931 Depth=3
	s_and_saveexec_b32 s16, s3
	s_delay_alu instid0(SALU_CYCLE_1)
	s_xor_b32 s16, exec_lo, s16
	s_cbranch_execz .LBB6_996
; %bb.982:                              ;   in Loop: Header=BB6_931 Depth=3
	s_and_saveexec_b32 s17, s6
	s_cbranch_execz .LBB6_995
; %bb.983:                              ;   in Loop: Header=BB6_931 Depth=3
	s_mov_b32 s20, exec_lo
	s_mov_b32 s19, exec_lo
	v_mbcnt_lo_u32_b32 v4, s20, 0
	;;#ASMSTART
	s_waitcnt lgkmcnt(0) vmcnt(0)
	;;#ASMEND
	s_delay_alu instid0(VALU_DEP_1)
	v_cmpx_eq_u32_e32 0, v4
	s_cbranch_execz .LBB6_985
; %bb.984:                              ;   in Loop: Header=BB6_931 Depth=3
	s_bcnt1_i32_b32 s20, s20
	s_delay_alu instid0(SALU_CYCLE_1)
	v_dual_mov_b32 v5, v2 :: v_dual_mov_b32 v4, s20
	s_wait_storecnt 0x0
	s_wait_loadcnt_dscnt 0x0
	ds_add_u64 v0, v[4:5]
	s_trap 2
.LBB6_985:                              ;   in Loop: Header=BB6_931 Depth=3
	s_or_b32 exec_lo, exec_lo, s19
	s_trap 2
	ds_load_b64 v[4:5], v0
	s_wait_dscnt 0x0
	v_add_nc_u64_e32 v[36:37], v[36:37], v[48:49]
	s_mov_b32 s19, exec_lo
	s_delay_alu instid0(VALU_DEP_1)
	v_cmpx_lt_u64_e64 v[4:5], v[36:37]
	s_cbranch_execz .LBB6_994
; %bb.986:                              ;   in Loop: Header=BB6_931 Depth=3
	s_mov_b32 s20, 0
	s_mov_b32 s43, 0
                                        ; implicit-def: $sgpr21
                                        ; implicit-def: $sgpr24
	s_branch .LBB6_988
.LBB6_987:                              ;   in Loop: Header=BB6_988 Depth=4
	s_or_b32 exec_lo, exec_lo, s73
	s_delay_alu instid0(SALU_CYCLE_1) | instskip(NEXT) | instid1(SALU_CYCLE_1)
	s_and_b32 s72, exec_lo, s74
	s_or_b32 s20, s72, s20
	s_and_not1_b32 s21, s21, exec_lo
	s_and_b32 s72, s24, exec_lo
	s_delay_alu instid0(SALU_CYCLE_1)
	s_or_b32 s21, s21, s72
	s_and_not1_b32 exec_lo, exec_lo, s20
	s_cbranch_execz .LBB6_992
.LBB6_988:                              ;   Parent Loop BB6_47 Depth=1
                                        ;     Parent Loop BB6_751 Depth=2
                                        ;       Parent Loop BB6_931 Depth=3
                                        ; =>      This Inner Loop Header: Depth=4
	s_add_co_i32 s43, s43, 1
	s_delay_alu instid0(SALU_CYCLE_1) | instskip(SKIP_1) | instid1(SALU_CYCLE_1)
	s_cmp_lg_u32 s43, 0x2710
	s_cselect_b32 s72, -1, 0
	s_and_b32 vcc_lo, exec_lo, s72
	s_cbranch_vccz .LBB6_990
; %bb.989:                              ;   in Loop: Header=BB6_988 Depth=4
	s_mov_b32 s74, -1
	s_or_b32 s24, s24, exec_lo
	s_and_saveexec_b32 s73, s72
	s_cbranch_execz .LBB6_987
	s_branch .LBB6_991
.LBB6_990:                              ;   in Loop: Header=BB6_988 Depth=4
	s_trap 2
	ds_load_b64 v[4:5], v0
	s_and_not1_b32 s72, s72, exec_lo
	s_mov_b32 s43, 0
	s_wait_storecnt 0x0
	s_wait_loadcnt_dscnt 0x0
	flat_load_b32 v4, v[4:5] scope:SCOPE_SYS
	s_wait_loadcnt_dscnt 0x0
	global_inv scope:SCOPE_SYS
	v_cmp_eq_u32_e32 vcc_lo, 0, v4
	s_and_b32 s73, vcc_lo, exec_lo
	s_delay_alu instid0(SALU_CYCLE_1)
	s_or_b32 s72, s72, s73
	s_mov_b32 s74, -1
	s_or_b32 s24, s24, exec_lo
	s_and_saveexec_b32 s73, s72
	s_cbranch_execz .LBB6_987
.LBB6_991:                              ;   in Loop: Header=BB6_988 Depth=4
	s_sleep 1
	s_trap 2
	ds_load_b64 v[4:5], v0
	s_wait_dscnt 0x0
	s_and_not1_b32 s24, s24, exec_lo
	v_cmp_ge_u64_e32 vcc_lo, v[4:5], v[36:37]
	s_or_not1_b32 s74, vcc_lo, exec_lo
	s_branch .LBB6_987
.LBB6_992:                              ;   in Loop: Header=BB6_931 Depth=3
	s_or_b32 exec_lo, exec_lo, s20
	s_and_saveexec_b32 s20, s21
	s_delay_alu instid0(SALU_CYCLE_1)
	s_xor_b32 s20, exec_lo, s20
	s_cbranch_execz .LBB6_994
; %bb.993:                              ;   in Loop: Header=BB6_931 Depth=3
	ds_store_b32 v0, v89
	s_trap 2
.LBB6_994:                              ;   in Loop: Header=BB6_931 Depth=3
	s_or_b32 exec_lo, exec_lo, s19
	;;#ASMSTART
	s_wakeup
	;;#ASMEND
.LBB6_995:                              ;   in Loop: Header=BB6_931 Depth=3
	s_or_b32 exec_lo, exec_lo, s17
.LBB6_996:                              ;   in Loop: Header=BB6_931 Depth=3
	s_and_not1_saveexec_b32 s16, s16
	s_cbranch_execz .LBB6_998
; %bb.997:                              ;   in Loop: Header=BB6_931 Depth=3
	;;#ASMSTART
	s_waitcnt lgkmcnt(0) vmcnt(0)
	;;#ASMEND
	s_barrier_signal -1
	s_barrier_wait -1
.LBB6_998:                              ;   in Loop: Header=BB6_931 Depth=3
	s_or_b32 exec_lo, exec_lo, s16
	v_and_b32_e32 v8, 16, v30
.LBB6_999:                              ;   in Loop: Header=BB6_931 Depth=3
	s_or_b32 exec_lo, exec_lo, s13
	s_delay_alu instid0(VALU_DEP_1) | instskip(SKIP_1) | instid1(SALU_CYCLE_1)
	v_cmp_ne_u32_e32 vcc_lo, 0, v8
	s_xor_b32 s13, s4, -1
	s_and_b32 s16, vcc_lo, s13
	s_delay_alu instid0(SALU_CYCLE_1)
	s_and_saveexec_b32 s13, s16
	s_cbranch_execz .LBB6_1001
; %bb.1000:                             ;   in Loop: Header=BB6_931 Depth=3
	global_wb scope:SCOPE_SYS
	s_wait_storecnt 0x0
	s_wait_loadcnt_dscnt 0x0
	flat_store_b32 v[34:35], v89 scope:SCOPE_SYS
.LBB6_1001:                             ;   in Loop: Header=BB6_931 Depth=3
	s_wait_xcnt 0x0
	s_or_b32 exec_lo, exec_lo, s13
	v_and_b32_e32 v4, 48, v30
	s_mov_b32 s13, exec_lo
	s_delay_alu instid0(VALU_DEP_1)
	v_cmpx_ne_u32_e32 0, v4
	s_cbranch_execz .LBB6_930
; %bb.1002:                             ;   in Loop: Header=BB6_931 Depth=3
	v_add_nc_u64_e32 v[112:113], 2, v[112:113]
	global_wb scope:SCOPE_SYS
	s_wait_storecnt 0x0
	s_wait_loadcnt_dscnt 0x0
	flat_store_b64 v[26:27], v[112:113] scope:SCOPE_SYS
	s_branch .LBB6_930
.LBB6_1003:                             ;   in Loop: Header=BB6_751 Depth=2
	s_or_b32 exec_lo, exec_lo, s15
.LBB6_1004:                             ;   in Loop: Header=BB6_751 Depth=2
	s_delay_alu instid0(SALU_CYCLE_1)
	s_or_b32 exec_lo, exec_lo, s14
	s_add_co_i32 s13, s18, 1
	s_cmp_eq_u32 s18, s60
	s_cbranch_scc1 .LBB6_1006
; %bb.1005:                             ;   in Loop: Header=BB6_751 Depth=2
	s_mov_b32 s18, s13
	s_branch .LBB6_751
.LBB6_1006:                             ;   in Loop: Header=BB6_47 Depth=1
	v_mul_u64_e32 v[10:11], s[44:45], v[102:103]
	v_dual_mov_b32 v9, 0 :: v_dual_mov_b32 v8, 0
	s_delay_alu instid0(VALU_DEP_2) | instskip(NEXT) | instid1(VALU_DEP_1)
	v_sub_nc_u64_e32 v[4:5], v[114:115], v[10:11]
	v_min_i64 v[4:5], v[102:103], v[4:5]
	s_delay_alu instid0(VALU_DEP_1) | instskip(SKIP_1) | instid1(VALU_DEP_2)
	v_max_i32_e32 v3, 0, v4
	v_cmp_lt_i32_e32 vcc_lo, 0, v4
	v_add_nc_u32_e32 v5, 31, v3
	s_and_b32 s13, s61, vcc_lo
	s_delay_alu instid0(VALU_DEP_1) | instskip(NEXT) | instid1(VALU_DEP_1)
	v_lshrrev_b32_e32 v5, 1, v5
	v_and_b32_e32 v5, 0x3ffffff0, v5
	s_delay_alu instid0(VALU_DEP_1)
	v_max_i32_e32 v118, s57, v5
	s_and_saveexec_b32 s14, s13
	s_cbranch_execz .LBB6_1144
; %bb.1007:                             ;   in Loop: Header=BB6_47 Depth=1
	v_add_nc_u64_e32 v[4:5], v[10:11], v[116:117]
	v_mov_b32_e32 v8, 0
	s_mov_b32 s17, 1
	s_mov_b32 s16, -1
	s_mov_b32 s15, 0
	s_delay_alu instid0(VALU_DEP_2)
	v_lshlrev_b64_e32 v[10:11], 2, v[4:5]
	s_branch .LBB6_1009
.LBB6_1008:                             ;   in Loop: Header=BB6_1009 Depth=2
	s_wait_xcnt 0x0
	s_or_b32 exec_lo, exec_lo, s13
	v_dual_mov_b32 v9, s17 :: v_dual_add_nc_u32 v8, v118, v8
	s_xor_b32 s13, s16, -1
	s_mov_b32 s16, 0
	s_mov_b32 s17, 2
	s_delay_alu instid0(VALU_DEP_1) | instskip(SKIP_1) | instid1(SALU_CYCLE_1)
	v_cmp_ge_i32_e32 vcc_lo, v8, v3
	s_or_b32 s13, s13, vcc_lo
	s_and_b32 s13, exec_lo, s13
	s_delay_alu instid0(SALU_CYCLE_1) | instskip(NEXT) | instid1(SALU_CYCLE_1)
	s_or_b32 s15, s13, s15
	s_and_not1_b32 exec_lo, exec_lo, s15
	s_cbranch_execz .LBB6_1143
.LBB6_1009:                             ;   Parent Loop BB6_47 Depth=1
                                        ; =>  This Loop Header: Depth=2
                                        ;       Child Loop BB6_1017 Depth 3
                                        ;       Child Loop BB6_1041 Depth 3
	;; [unrolled: 1-line block ×9, first 2 shown]
	s_and_saveexec_b32 s13, s0
	s_cbranch_execz .LBB6_1011
; %bb.1010:                             ;   in Loop: Header=BB6_1009 Depth=2
	s_trap 2
	ds_load_b128 v[12:15], v0
	s_wait_dscnt 0x0
	v_cmp_ne_u64_e32 vcc_lo, 0, v[14:15]
	v_ashrrev_i32_e32 v9, 31, v8
	v_add_nc_u64_e32 v[16:17], v[14:15], v[10:11]
	v_add_nc_u64_e32 v[12:13], v[12:13], v[10:11]
	s_delay_alu instid0(VALU_DEP_3) | instskip(NEXT) | instid1(VALU_DEP_1)
	v_lshlrev_b64_e32 v[4:5], 2, v[8:9]
	v_add_nc_u64_e32 v[16:17], v[16:17], v[4:5]
	s_delay_alu instid0(VALU_DEP_3) | instskip(NEXT) | instid1(VALU_DEP_2)
	v_add_nc_u64_e32 v[4:5], v[12:13], v[4:5]
	v_dual_cndmask_b32 v13, 0, v17 :: v_dual_cndmask_b32 v12, 0, v16
	ds_store_b64 v0, v[4:5]
	ds_store_b64 v0, v[12:13]
.LBB6_1011:                             ;   in Loop: Header=BB6_1009 Depth=2
	s_or_b32 exec_lo, exec_lo, s13
	v_and_b32_e32 v4, 4, v30
	s_mov_b32 s18, exec_lo
	s_delay_alu instid0(VALU_DEP_1)
	v_cmpx_ne_u32_e32 0, v4
	s_cbranch_execz .LBB6_1033
; %bb.1012:                             ;   in Loop: Header=BB6_1009 Depth=2
	v_add_nc_u64_e32 v[12:13], 2, v[112:113]
	s_mov_b32 s19, exec_lo
	s_wait_loadcnt_dscnt 0x1
	s_delay_alu instid0(VALU_DEP_1)
	v_cmpx_lt_u64_e64 v[38:39], v[12:13]
	s_cbranch_execz .LBB6_1024
; %bb.1013:                             ;   in Loop: Header=BB6_1009 Depth=2
	v_and_b32_e32 v4, 64, v30
	s_mov_b32 s20, 0
	s_mov_b32 s72, 0
                                        ; implicit-def: $sgpr21
                                        ; implicit-def: $sgpr24
                                        ; implicit-def: $sgpr43
	s_delay_alu instid0(VALU_DEP_1)
	v_cmp_eq_u32_e32 vcc_lo, 0, v4
	s_branch .LBB6_1017
.LBB6_1014:                             ;   in Loop: Header=BB6_1017 Depth=3
	s_wait_loadcnt_dscnt 0x0
	v_cmp_ge_u64_e64 s13, v[38:39], v[12:13]
	s_or_b32 s75, s75, exec_lo
	s_or_not1_b32 s74, s13, exec_lo
.LBB6_1015:                             ;   in Loop: Header=BB6_1017 Depth=3
	s_or_b32 exec_lo, exec_lo, s77
	s_delay_alu instid0(SALU_CYCLE_1)
	s_and_not1_b32 s13, s43, exec_lo
	s_and_b32 s43, s75, exec_lo
	s_and_not1_b32 s24, s24, exec_lo
	s_and_b32 s74, s74, exec_lo
	s_or_b32 s43, s13, s43
	s_or_b32 s24, s24, s74
.LBB6_1016:                             ;   in Loop: Header=BB6_1017 Depth=3
	s_or_b32 exec_lo, exec_lo, s73
	s_delay_alu instid0(SALU_CYCLE_1) | instskip(NEXT) | instid1(SALU_CYCLE_1)
	s_and_b32 s13, exec_lo, s24
	s_or_b32 s20, s13, s20
	s_and_not1_b32 s13, s21, exec_lo
	s_and_b32 s21, s43, exec_lo
	s_delay_alu instid0(SALU_CYCLE_1)
	s_or_b32 s21, s13, s21
	s_and_not1_b32 exec_lo, exec_lo, s20
	s_cbranch_execz .LBB6_1021
.LBB6_1017:                             ;   Parent Loop BB6_47 Depth=1
                                        ;     Parent Loop BB6_1009 Depth=2
                                        ; =>    This Inner Loop Header: Depth=3
	s_sleep 1
	s_wait_loadcnt_dscnt 0x0
	flat_load_b64 v[38:39], v[26:27] scope:SCOPE_SYS
	s_or_b32 s43, s43, exec_lo
	s_or_b32 s24, s24, exec_lo
                                        ; implicit-def: $vgpr9
	s_wait_xcnt 0x0
	s_and_saveexec_b32 s73, vcc_lo
	s_cbranch_execz .LBB6_1016
; %bb.1018:                             ;   in Loop: Header=BB6_1017 Depth=3
	s_cmp_lt_i32 s72, 0x270f
	s_mov_b32 s74, -1
	s_cselect_b32 s76, -1, 0
	s_cmp_gt_i32 s72, 0x270e
	s_cbranch_scc0 .LBB6_1020
; %bb.1019:                             ;   in Loop: Header=BB6_1017 Depth=3
	s_trap 2
	ds_load_b64 v[4:5], v0
	s_and_not1_b32 s72, s76, exec_lo
	s_mov_b32 s75, 0
	s_wait_storecnt 0x0
	s_wait_loadcnt_dscnt 0x0
	flat_load_b32 v9, v[4:5] scope:SCOPE_SYS
	s_wait_loadcnt_dscnt 0x0
	global_inv scope:SCOPE_SYS
	v_cmp_eq_u32_e64 s13, 0, v9
	s_and_b32 s13, s13, exec_lo
	s_delay_alu instid0(SALU_CYCLE_1)
	s_or_b32 s76, s72, s13
	s_mov_b32 s72, 0
	s_and_saveexec_b32 s77, s76
	s_cbranch_execz .LBB6_1015
	s_branch .LBB6_1014
.LBB6_1020:                             ;   in Loop: Header=BB6_1017 Depth=3
	s_add_co_i32 s72, s72, 1
	s_mov_b32 s75, -1
                                        ; implicit-def: $vgpr9
	s_and_saveexec_b32 s77, s76
	s_cbranch_execz .LBB6_1015
	s_branch .LBB6_1014
.LBB6_1021:                             ;   in Loop: Header=BB6_1009 Depth=2
	s_or_b32 exec_lo, exec_lo, s20
	s_xor_b32 s13, s21, -1
	s_delay_alu instid0(SALU_CYCLE_1) | instskip(NEXT) | instid1(SALU_CYCLE_1)
	s_and_saveexec_b32 s20, s13
	s_xor_b32 s13, exec_lo, s20
	s_cbranch_execz .LBB6_1023
; %bb.1022:                             ;   in Loop: Header=BB6_1009 Depth=2
	v_or_b32_e32 v30, 64, v30
	s_wait_storecnt 0x0
	s_wait_loadcnt_dscnt 0x0
	ds_store_b32 v0, v9
	s_trap 2
.LBB6_1023:                             ;   in Loop: Header=BB6_1009 Depth=2
	s_or_b32 exec_lo, exec_lo, s13
.LBB6_1024:                             ;   in Loop: Header=BB6_1009 Depth=2
	s_delay_alu instid0(SALU_CYCLE_1)
	s_or_b32 exec_lo, exec_lo, s19
	v_and_b32_e32 v4, 0x100, v30
	v_dual_mov_b32 v15, v2 :: v_dual_bitop2_b32 v14, 7, v112 bitop3:0x40
	s_mov_b32 s13, -1
	s_mov_b32 s19, exec_lo
	;;#ASMSTART
	s_wakeup
	;;#ASMEND
                                        ; implicit-def: $vgpr16_vgpr17
	v_cmpx_ne_u32_e32 0, v4
	s_cbranch_execz .LBB6_1028
; %bb.1025:                             ;   in Loop: Header=BB6_1009 Depth=2
	v_mad_nc_u64_u32 v[18:19], v14, 24, v[6:7]
	s_mov_b32 s20, exec_lo
                                        ; implicit-def: $vgpr16_vgpr17
	flat_load_b32 v4, v[18:19]
	s_wait_loadcnt_dscnt 0x0
	v_cmp_ne_u32_e32 vcc_lo, 1, v4
	s_wait_xcnt 0x0
	v_cmpx_eq_u32_e32 1, v4
	s_cbranch_execz .LBB6_1027
; %bb.1026:                             ;   in Loop: Header=BB6_1009 Depth=2
	flat_load_b32 v4, v[18:19] offset:4 scope:SCOPE_SYS
	s_wait_loadcnt_dscnt 0x0
	v_ashrrev_i32_e32 v5, 31, v4
	s_delay_alu instid0(VALU_DEP_1)
	v_lshrrev_b64 v[16:17], 2, v[4:5]
.LBB6_1027:                             ;   in Loop: Header=BB6_1009 Depth=2
	s_wait_xcnt 0x0
	s_or_b32 exec_lo, exec_lo, s20
	s_delay_alu instid0(SALU_CYCLE_1)
	s_or_not1_b32 s13, vcc_lo, exec_lo
.LBB6_1028:                             ;   in Loop: Header=BB6_1009 Depth=2
	s_or_b32 exec_lo, exec_lo, s19
	s_and_saveexec_b32 s19, s13
; %bb.1029:                             ;   in Loop: Header=BB6_1009 Depth=2
	v_mul_u64_e32 v[16:17], v[14:15], v[28:29]
; %bb.1030:                             ;   in Loop: Header=BB6_1009 Depth=2
	s_or_b32 exec_lo, exec_lo, s19
	v_and_b32_e32 v9, 0x2000, v30
	s_delay_alu instid0(VALU_DEP_2)
	v_lshl_add_u64 v[4:5], v[16:17], 2, v[32:33]
	s_mov_b32 s13, exec_lo
	ds_store_b64 v0, v[4:5] offset:720
	v_cmpx_ne_u32_e32 0, v9
	s_cbranch_execz .LBB6_1032
; %bb.1031:                             ;   in Loop: Header=BB6_1009 Depth=2
	ds_load_b64 v[4:5], v0 offset:872
	s_wait_dscnt 0x0
	v_add_nc_u64_e32 v[4:5], 1, v[4:5]
	ds_store_b64 v0, v[4:5] offset:872
.LBB6_1032:                             ;   in Loop: Header=BB6_1009 Depth=2
	s_or_b32 exec_lo, exec_lo, s13
	v_mov_b64_e32 v[112:113], v[12:13]
.LBB6_1033:                             ;   in Loop: Header=BB6_1009 Depth=2
	s_or_b32 exec_lo, exec_lo, s18
	s_and_saveexec_b32 s13, s2
	s_cbranch_execz .LBB6_1052
; %bb.1034:                             ;   in Loop: Header=BB6_1009 Depth=2
	s_and_saveexec_b32 s18, s3
	s_delay_alu instid0(SALU_CYCLE_1)
	s_xor_b32 s18, exec_lo, s18
	s_cbranch_execz .LBB6_1049
; %bb.1035:                             ;   in Loop: Header=BB6_1009 Depth=2
	s_and_saveexec_b32 s19, s6
	s_cbranch_execz .LBB6_1048
; %bb.1036:                             ;   in Loop: Header=BB6_1009 Depth=2
	s_mov_b32 s21, exec_lo
	s_mov_b32 s20, exec_lo
	v_mbcnt_lo_u32_b32 v4, s21, 0
	global_wb scope:SCOPE_DEV
	s_wait_storecnt 0x0
	s_wait_loadcnt_dscnt 0x0
	global_inv scope:SCOPE_DEV
	v_cmpx_eq_u32_e32 0, v4
	s_cbranch_execz .LBB6_1038
; %bb.1037:                             ;   in Loop: Header=BB6_1009 Depth=2
	s_bcnt1_i32_b32 s21, s21
	s_delay_alu instid0(SALU_CYCLE_1)
	v_dual_mov_b32 v5, v2 :: v_dual_mov_b32 v4, s21
	s_wait_loadcnt 0x0
	ds_add_u64 v0, v[4:5]
	s_trap 2
.LBB6_1038:                             ;   in Loop: Header=BB6_1009 Depth=2
	s_or_b32 exec_lo, exec_lo, s20
	s_trap 2
	ds_load_b64 v[4:5], v0
	s_wait_dscnt 0x0
	v_add_nc_u64_e32 v[36:37], v[36:37], v[48:49]
	s_mov_b32 s20, exec_lo
	s_delay_alu instid0(VALU_DEP_1)
	v_cmpx_lt_u64_e64 v[4:5], v[36:37]
	s_cbranch_execz .LBB6_1047
; %bb.1039:                             ;   in Loop: Header=BB6_1009 Depth=2
	s_mov_b32 s21, 0
	s_mov_b32 s72, 0
                                        ; implicit-def: $sgpr24
                                        ; implicit-def: $sgpr43
	s_branch .LBB6_1041
.LBB6_1040:                             ;   in Loop: Header=BB6_1041 Depth=3
	s_or_b32 exec_lo, exec_lo, s74
	s_delay_alu instid0(SALU_CYCLE_1) | instskip(NEXT) | instid1(SALU_CYCLE_1)
	s_and_b32 s73, exec_lo, s75
	s_or_b32 s21, s73, s21
	s_and_not1_b32 s24, s24, exec_lo
	s_and_b32 s73, s43, exec_lo
	s_delay_alu instid0(SALU_CYCLE_1)
	s_or_b32 s24, s24, s73
	s_and_not1_b32 exec_lo, exec_lo, s21
	s_cbranch_execz .LBB6_1045
.LBB6_1041:                             ;   Parent Loop BB6_47 Depth=1
                                        ;     Parent Loop BB6_1009 Depth=2
                                        ; =>    This Inner Loop Header: Depth=3
	s_add_co_i32 s72, s72, 1
	s_delay_alu instid0(SALU_CYCLE_1) | instskip(SKIP_1) | instid1(SALU_CYCLE_1)
	s_cmp_lg_u32 s72, 0x2710
	s_cselect_b32 s73, -1, 0
	s_and_b32 vcc_lo, exec_lo, s73
	s_cbranch_vccz .LBB6_1043
; %bb.1042:                             ;   in Loop: Header=BB6_1041 Depth=3
	s_mov_b32 s75, -1
	s_or_b32 s43, s43, exec_lo
	s_and_saveexec_b32 s74, s73
	s_cbranch_execz .LBB6_1040
	s_branch .LBB6_1044
.LBB6_1043:                             ;   in Loop: Header=BB6_1041 Depth=3
	s_trap 2
	ds_load_b64 v[4:5], v0
	s_and_not1_b32 s73, s73, exec_lo
	s_mov_b32 s72, 0
	s_wait_loadcnt_dscnt 0x0
	flat_load_b32 v4, v[4:5] scope:SCOPE_SYS
	s_wait_loadcnt_dscnt 0x0
	global_inv scope:SCOPE_SYS
	v_cmp_eq_u32_e32 vcc_lo, 0, v4
	s_and_b32 s74, vcc_lo, exec_lo
	s_delay_alu instid0(SALU_CYCLE_1)
	s_or_b32 s73, s73, s74
	s_mov_b32 s75, -1
	s_or_b32 s43, s43, exec_lo
	s_and_saveexec_b32 s74, s73
	s_cbranch_execz .LBB6_1040
.LBB6_1044:                             ;   in Loop: Header=BB6_1041 Depth=3
	s_sleep 1
	s_trap 2
	ds_load_b64 v[4:5], v0
	s_wait_dscnt 0x0
	s_and_not1_b32 s43, s43, exec_lo
	v_cmp_ge_u64_e32 vcc_lo, v[4:5], v[36:37]
	s_or_not1_b32 s75, vcc_lo, exec_lo
	s_branch .LBB6_1040
.LBB6_1045:                             ;   in Loop: Header=BB6_1009 Depth=2
	s_or_b32 exec_lo, exec_lo, s21
	s_and_saveexec_b32 s21, s24
	s_delay_alu instid0(SALU_CYCLE_1)
	s_xor_b32 s21, exec_lo, s21
	s_cbranch_execz .LBB6_1047
; %bb.1046:                             ;   in Loop: Header=BB6_1009 Depth=2
	ds_store_b32 v0, v89
	s_trap 2
.LBB6_1047:                             ;   in Loop: Header=BB6_1009 Depth=2
	s_or_b32 exec_lo, exec_lo, s20
	;;#ASMSTART
	s_wakeup
	;;#ASMEND
.LBB6_1048:                             ;   in Loop: Header=BB6_1009 Depth=2
	s_or_b32 exec_lo, exec_lo, s19
.LBB6_1049:                             ;   in Loop: Header=BB6_1009 Depth=2
	s_and_not1_saveexec_b32 s18, s18
	s_cbranch_execz .LBB6_1051
; %bb.1050:                             ;   in Loop: Header=BB6_1009 Depth=2
	global_wb scope:SCOPE_DEV
	s_wait_storecnt 0x0
	s_wait_loadcnt_dscnt 0x0
	global_inv scope:SCOPE_DEV
	s_barrier_signal -1
	s_barrier_wait -1
.LBB6_1051:                             ;   in Loop: Header=BB6_1009 Depth=2
	s_or_b32 exec_lo, exec_lo, s18
.LBB6_1052:                             ;   in Loop: Header=BB6_1009 Depth=2
	s_delay_alu instid0(SALU_CYCLE_1) | instskip(SKIP_4) | instid1(VALU_DEP_1)
	s_or_b32 exec_lo, exec_lo, s13
	s_trap 2
	ds_load_b32 v9, v0
	v_and_b32_e32 v4, 0x4000, v30
	s_xor_b32 s13, s1, -1
	v_cmp_ne_u32_e32 vcc_lo, 0, v4
	s_and_b32 s18, s13, vcc_lo
	s_delay_alu instid0(SALU_CYCLE_1)
	s_and_saveexec_b32 s13, s18
	s_cbranch_execz .LBB6_1071
; %bb.1053:                             ;   in Loop: Header=BB6_1009 Depth=2
	s_and_saveexec_b32 s18, s3
	s_delay_alu instid0(SALU_CYCLE_1)
	s_xor_b32 s18, exec_lo, s18
	s_cbranch_execz .LBB6_1068
; %bb.1054:                             ;   in Loop: Header=BB6_1009 Depth=2
	s_and_saveexec_b32 s19, s6
	s_cbranch_execz .LBB6_1067
; %bb.1055:                             ;   in Loop: Header=BB6_1009 Depth=2
	s_mov_b32 s21, exec_lo
	s_mov_b32 s20, exec_lo
	v_mbcnt_lo_u32_b32 v4, s21, 0
	global_wb scope:SCOPE_DEV
	s_wait_storecnt 0x0
	s_wait_loadcnt_dscnt 0x0
	global_inv scope:SCOPE_DEV
	v_cmpx_eq_u32_e32 0, v4
	s_cbranch_execz .LBB6_1057
; %bb.1056:                             ;   in Loop: Header=BB6_1009 Depth=2
	s_bcnt1_i32_b32 s21, s21
	s_delay_alu instid0(SALU_CYCLE_1)
	v_dual_mov_b32 v5, v2 :: v_dual_mov_b32 v4, s21
	s_wait_loadcnt 0x0
	ds_add_u64 v0, v[4:5]
	s_trap 2
.LBB6_1057:                             ;   in Loop: Header=BB6_1009 Depth=2
	s_or_b32 exec_lo, exec_lo, s20
	s_trap 2
	ds_load_b64 v[4:5], v0
	s_wait_dscnt 0x0
	v_add_nc_u64_e32 v[36:37], v[36:37], v[48:49]
	s_mov_b32 s20, exec_lo
	s_delay_alu instid0(VALU_DEP_1)
	v_cmpx_lt_u64_e64 v[4:5], v[36:37]
	s_cbranch_execz .LBB6_1066
; %bb.1058:                             ;   in Loop: Header=BB6_1009 Depth=2
	s_mov_b32 s21, 0
	s_mov_b32 s72, 0
                                        ; implicit-def: $sgpr24
                                        ; implicit-def: $sgpr43
	s_branch .LBB6_1060
.LBB6_1059:                             ;   in Loop: Header=BB6_1060 Depth=3
	s_or_b32 exec_lo, exec_lo, s74
	s_delay_alu instid0(SALU_CYCLE_1) | instskip(NEXT) | instid1(SALU_CYCLE_1)
	s_and_b32 s73, exec_lo, s75
	s_or_b32 s21, s73, s21
	s_and_not1_b32 s24, s24, exec_lo
	s_and_b32 s73, s43, exec_lo
	s_delay_alu instid0(SALU_CYCLE_1)
	s_or_b32 s24, s24, s73
	s_and_not1_b32 exec_lo, exec_lo, s21
	s_cbranch_execz .LBB6_1064
.LBB6_1060:                             ;   Parent Loop BB6_47 Depth=1
                                        ;     Parent Loop BB6_1009 Depth=2
                                        ; =>    This Inner Loop Header: Depth=3
	s_add_co_i32 s72, s72, 1
	s_delay_alu instid0(SALU_CYCLE_1) | instskip(SKIP_1) | instid1(SALU_CYCLE_1)
	s_cmp_lg_u32 s72, 0x2710
	s_cselect_b32 s73, -1, 0
	s_and_b32 vcc_lo, exec_lo, s73
	s_cbranch_vccz .LBB6_1062
; %bb.1061:                             ;   in Loop: Header=BB6_1060 Depth=3
	s_mov_b32 s75, -1
	s_or_b32 s43, s43, exec_lo
	s_and_saveexec_b32 s74, s73
	s_cbranch_execz .LBB6_1059
	s_branch .LBB6_1063
.LBB6_1062:                             ;   in Loop: Header=BB6_1060 Depth=3
	s_trap 2
	ds_load_b64 v[4:5], v0
	s_and_not1_b32 s73, s73, exec_lo
	s_mov_b32 s72, 0
	s_wait_loadcnt_dscnt 0x0
	flat_load_b32 v4, v[4:5] scope:SCOPE_SYS
	s_wait_loadcnt_dscnt 0x0
	global_inv scope:SCOPE_SYS
	v_cmp_eq_u32_e32 vcc_lo, 0, v4
	s_and_b32 s74, vcc_lo, exec_lo
	s_delay_alu instid0(SALU_CYCLE_1)
	s_or_b32 s73, s73, s74
	s_mov_b32 s75, -1
	s_or_b32 s43, s43, exec_lo
	s_and_saveexec_b32 s74, s73
	s_cbranch_execz .LBB6_1059
.LBB6_1063:                             ;   in Loop: Header=BB6_1060 Depth=3
	s_sleep 1
	s_trap 2
	ds_load_b64 v[4:5], v0
	s_wait_dscnt 0x0
	s_and_not1_b32 s43, s43, exec_lo
	v_cmp_ge_u64_e32 vcc_lo, v[4:5], v[36:37]
	s_or_not1_b32 s75, vcc_lo, exec_lo
	s_branch .LBB6_1059
.LBB6_1064:                             ;   in Loop: Header=BB6_1009 Depth=2
	s_or_b32 exec_lo, exec_lo, s21
	s_and_saveexec_b32 s21, s24
	s_delay_alu instid0(SALU_CYCLE_1)
	s_xor_b32 s21, exec_lo, s21
	s_cbranch_execz .LBB6_1066
; %bb.1065:                             ;   in Loop: Header=BB6_1009 Depth=2
	ds_store_b32 v0, v89
	s_trap 2
.LBB6_1066:                             ;   in Loop: Header=BB6_1009 Depth=2
	s_or_b32 exec_lo, exec_lo, s20
	;;#ASMSTART
	s_wakeup
	;;#ASMEND
.LBB6_1067:                             ;   in Loop: Header=BB6_1009 Depth=2
	s_or_b32 exec_lo, exec_lo, s19
.LBB6_1068:                             ;   in Loop: Header=BB6_1009 Depth=2
	s_and_not1_saveexec_b32 s18, s18
	s_cbranch_execz .LBB6_1070
; %bb.1069:                             ;   in Loop: Header=BB6_1009 Depth=2
	global_wb scope:SCOPE_DEV
	s_wait_storecnt 0x0
	s_wait_loadcnt_dscnt 0x0
	global_inv scope:SCOPE_DEV
	s_barrier_signal -1
	s_barrier_wait -1
.LBB6_1070:                             ;   in Loop: Header=BB6_1009 Depth=2
	s_or_b32 exec_lo, exec_lo, s18
.LBB6_1071:                             ;   in Loop: Header=BB6_1009 Depth=2
	s_delay_alu instid0(SALU_CYCLE_1) | instskip(SKIP_3) | instid1(VALU_DEP_1)
	s_or_b32 exec_lo, exec_lo, s13
	s_trap 2
	ds_load_b64 v[12:13], v0
	v_sub_nc_u32_e32 v4, v3, v8
	v_min_i32_e32 v118, v118, v4
	s_wait_dscnt 0x0
	v_cmp_eq_u64_e32 vcc_lo, 0, v[12:13]
	s_cbranch_vccnz .LBB6_1079
; %bb.1072:                             ;   in Loop: Header=BB6_1009 Depth=2
	s_trap 2
	ds_load_b64 v[14:15], v0
	s_wait_dscnt 0x0
	v_cmp_eq_u64_e32 vcc_lo, 0, v[14:15]
	s_cbranch_vccnz .LBB6_1079
; %bb.1073:                             ;   in Loop: Header=BB6_1009 Depth=2
	s_mov_b32 s13, -1
	s_and_saveexec_b32 s18, s10
	s_cbranch_execz .LBB6_1075
; %bb.1074:                             ;   in Loop: Header=BB6_1009 Depth=2
	ds_load_b32 v4, v0 offset:720
	s_wait_dscnt 0x0
	v_and_b32_e32 v4, 15, v4
	s_delay_alu instid0(VALU_DEP_1)
	v_cmp_eq_u32_e32 vcc_lo, 0, v4
	s_or_not1_b32 s13, vcc_lo, exec_lo
.LBB6_1075:                             ;   in Loop: Header=BB6_1009 Depth=2
	s_or_b32 exec_lo, exec_lo, s18
	s_and_saveexec_b32 s18, s7
	s_cbranch_execz .LBB6_1077
; %bb.1076:                             ;   in Loop: Header=BB6_1009 Depth=2
	ds_load_b32 v4, v0 offset:784
	s_wait_dscnt 0x0
	v_and_b32_e32 v4, 15, v4
	s_delay_alu instid0(VALU_DEP_1) | instskip(SKIP_3) | instid1(SALU_CYCLE_1)
	v_cmp_eq_u32_e32 vcc_lo, 0, v4
	s_and_b32 s19, s13, vcc_lo
	s_and_not1_b32 s13, s13, exec_lo
	s_and_b32 s19, s19, exec_lo
	s_or_b32 s13, s13, s19
.LBB6_1077:                             ;   in Loop: Header=BB6_1009 Depth=2
	s_or_b32 exec_lo, exec_lo, s18
	v_cmp_eq_u32_e32 vcc_lo, 0, v9
	s_xor_b32 s13, s13, -1
	s_mov_b32 s19, -1
	v_cndmask_b32_e64 v4, 0, 1, s13
	v_dual_mov_b32 v117, 0 :: v_dual_cndmask_b32 v9, 0, v118, vcc_lo
	s_delay_alu instid0(VALU_DEP_2) | instskip(NEXT) | instid1(VALU_DEP_2)
	v_cmp_ne_u32_e32 vcc_lo, 0, v4
	v_lshlrev_b32_e32 v116, 2, v9
	s_cbranch_vccz .LBB6_1084
; %bb.1078:                             ;   in Loop: Header=BB6_1009 Depth=2
	v_mov_b32_e32 v119, v0
	s_and_saveexec_b32 s13, s19
	s_cbranch_execnz .LBB6_1095
	s_branch .LBB6_1103
.LBB6_1079:                             ;   in Loop: Header=BB6_1009 Depth=2
	s_mov_b32 s13, 0
	s_and_saveexec_b32 s18, s2
	s_cbranch_execnz .LBB6_1104
.LBB6_1080:                             ;   in Loop: Header=BB6_1009 Depth=2
	s_or_b32 exec_lo, exec_lo, s18
	s_and_saveexec_b32 s18, s12
	s_delay_alu instid0(SALU_CYCLE_1)
	s_xor_b32 s18, exec_lo, s18
	s_cbranch_execz .LBB6_1122
.LBB6_1081:                             ;   in Loop: Header=BB6_1009 Depth=2
	v_and_b32_e32 v4, 16, v30
	s_delay_alu instid0(VALU_DEP_1) | instskip(SKIP_1) | instid1(SALU_CYCLE_1)
	v_cmp_ne_u32_e32 vcc_lo, 0, v4
	s_and_b32 s19, vcc_lo, s13
	s_and_saveexec_b32 s13, s19
	s_cbranch_execz .LBB6_1083
; %bb.1082:                             ;   in Loop: Header=BB6_1009 Depth=2
	global_wb scope:SCOPE_SYS
	s_wait_storecnt 0x0
	s_wait_loadcnt_dscnt 0x0
	global_inv scope:SCOPE_SYS
.LBB6_1083:                             ;   in Loop: Header=BB6_1009 Depth=2
	s_or_b32 exec_lo, exec_lo, s13
	s_and_not1_saveexec_b32 s13, s18
	s_cbranch_execz .LBB6_1141
	s_branch .LBB6_1123
.LBB6_1084:                             ;   in Loop: Header=BB6_1009 Depth=2
	s_delay_alu instid0(VALU_DEP_1) | instskip(SKIP_1) | instid1(VALU_DEP_1)
	v_ashrrev_i32_e32 v4, 31, v116
	s_mov_b32 s13, exec_lo
	v_lshrrev_b32_e32 v4, 20, v4
	s_delay_alu instid0(VALU_DEP_1) | instskip(NEXT) | instid1(VALU_DEP_1)
	v_add_nc_u32_e32 v4, v116, v4
	v_ashrrev_i32_e32 v115, 12, v4
	s_delay_alu instid0(VALU_DEP_1) | instskip(NEXT) | instid1(VALU_DEP_1)
	v_sub_nc_u32_e32 v114, v115, v88
	v_cmpx_lt_i32_e32 0, v114
	s_cbranch_execz .LBB6_1088
; %bb.1085:                             ;   in Loop: Header=BB6_1009 Depth=2
	v_mov_b64_e32 v[16:17], v[14:15]
	v_mov_b64_e32 v[18:19], v[12:13]
	s_mov_b32 s18, 0
.LBB6_1086:                             ;   Parent Loop BB6_47 Depth=1
                                        ;     Parent Loop BB6_1009 Depth=2
                                        ; =>    This Inner Loop Header: Depth=3
	s_delay_alu instid0(VALU_DEP_1)
	v_add_nc_u64_e32 v[4:5], v[82:83], v[18:19]
	v_sub_nc_u32_e32 v114, v114, v48
	v_add_nc_u64_e32 v[18:19], v[18:19], v[54:55]
	s_clause 0x7
	global_load_b128 v[22:25], v[4:5], off th:TH_LOAD_NT
	global_load_b128 v[50:53], v[4:5], off offset:512 th:TH_LOAD_NT
	global_load_b128 v[40:43], v[4:5], off offset:1024 th:TH_LOAD_NT
	;; [unrolled: 1-line block ×7, first 2 shown]
	s_wait_xcnt 0x0
	v_add_nc_u64_e32 v[4:5], v[82:83], v[16:17]
	v_add_nc_u64_e32 v[16:17], v[16:17], v[54:55]
	v_cmp_gt_i32_e32 vcc_lo, 1, v114
	s_wait_loadcnt 0x7
	global_store_b128 v[4:5], v[22:25], off th:TH_STORE_NT
	s_wait_loadcnt 0x6
	global_store_b128 v[4:5], v[50:53], off offset:512 th:TH_STORE_NT
	s_wait_loadcnt 0x5
	global_store_b128 v[4:5], v[40:43], off offset:1024 th:TH_STORE_NT
	;; [unrolled: 2-line block ×7, first 2 shown]
	s_or_b32 s18, vcc_lo, s18
	s_wait_xcnt 0x0
	s_and_not1_b32 exec_lo, exec_lo, s18
	s_cbranch_execnz .LBB6_1086
; %bb.1087:                             ;   in Loop: Header=BB6_1009 Depth=2
	s_or_b32 exec_lo, exec_lo, s18
.LBB6_1088:                             ;   in Loop: Header=BB6_1009 Depth=2
	s_delay_alu instid0(SALU_CYCLE_1) | instskip(SKIP_3) | instid1(VALU_DEP_1)
	s_or_b32 exec_lo, exec_lo, s13
	v_dual_mov_b32 v117, 0 :: v_dual_lshlrev_b32 v18, 12, v115
	s_mov_b32 s19, 0
	s_mov_b32 s18, exec_lo
                                        ; implicit-def: $vgpr119
	v_cmpx_ne_u32_e64 v116, v18
	s_cbranch_execz .LBB6_1094
; %bb.1089:                             ;   in Loop: Header=BB6_1009 Depth=2
	v_lshlrev_b32_e32 v4, 5, v114
	v_sub_nc_u32_e32 v17, v116, v18
	s_mov_b32 s19, exec_lo
	s_delay_alu instid0(VALU_DEP_1) | instskip(NEXT) | instid1(VALU_DEP_1)
	v_dual_sub_nc_u32 v4, v124, v4 :: v_dual_ashrrev_i32 v16, 31, v17
	v_ashrrev_i32_e32 v5, 31, v4
	s_delay_alu instid0(VALU_DEP_1) | instskip(NEXT) | instid1(VALU_DEP_1)
	v_dual_lshrrev_b32 v16, 23, v16 :: v_dual_lshrrev_b32 v5, 27, v5
	v_dual_add_nc_u32 v16, v17, v16 :: v_dual_add_nc_u32 v5, v4, v5
	s_delay_alu instid0(VALU_DEP_1) | instskip(SKIP_1) | instid1(VALU_DEP_3)
	v_and_b32_e32 v114, 0xfffffe00, v16
	v_ashrrev_i32_e32 v22, 9, v16
	v_and_b32_e32 v19, 0xffffffe0, v5
	s_delay_alu instid0(VALU_DEP_1) | instskip(SKIP_1) | instid1(VALU_DEP_2)
	v_dual_sub_nc_u32 v115, v17, v114 :: v_dual_sub_nc_u32 v19, v4, v19
	v_ashrrev_i32_e32 v4, 5, v5
	v_cmp_lt_i32_e32 vcc_lo, 15, v115
	s_delay_alu instid0(VALU_DEP_3) | instskip(NEXT) | instid1(VALU_DEP_1)
	v_lshlrev_b32_e32 v5, 4, v19
	v_lshl_add_u32 v16, v4, 9, v5
	v_add_co_ci_u32_e64 v5, null, 0, v22, vcc_lo
	s_delay_alu instid0(VALU_DEP_2) | instskip(NEXT) | instid1(VALU_DEP_2)
	v_sub_nc_u32_e32 v119, v17, v16
	v_sub_nc_u32_e32 v117, v5, v4
	s_delay_alu instid0(VALU_DEP_2)
	v_cmpx_lt_i32_e32 15, v119
	s_cbranch_execz .LBB6_1093
; %bb.1090:                             ;   in Loop: Header=BB6_1009 Depth=2
	v_add_nc_u32_e32 v16, v16, v18
	s_mov_b32 s20, 0
	s_delay_alu instid0(VALU_DEP_1)
	v_ashrrev_i32_e32 v17, 31, v16
.LBB6_1091:                             ;   Parent Loop BB6_47 Depth=1
                                        ;     Parent Loop BB6_1009 Depth=2
                                        ; =>    This Inner Loop Header: Depth=3
	s_delay_alu instid0(VALU_DEP_1) | instskip(SKIP_2) | instid1(VALU_DEP_2)
	v_add_nc_u64_e32 v[4:5], v[12:13], v[16:17]
	v_sub_nc_u32_e32 v119, v119, v64
	v_sub_nc_u32_e32 v117, v117, v48
	v_cmp_gt_i32_e64 s13, 16, v119
	global_load_b128 v[22:25], v[4:5], off th:TH_LOAD_NT
	s_wait_xcnt 0x0
	v_add_nc_u64_e32 v[4:5], v[14:15], v[16:17]
	v_add_nc_u64_e32 v[16:17], v[16:17], v[64:65]
	s_or_b32 s20, s13, s20
	s_wait_loadcnt 0x0
	global_store_b128 v[4:5], v[22:25], off th:TH_STORE_NT
	s_wait_xcnt 0x0
	s_and_not1_b32 exec_lo, exec_lo, s20
	s_cbranch_execnz .LBB6_1091
; %bb.1092:                             ;   in Loop: Header=BB6_1009 Depth=2
	s_or_b32 exec_lo, exec_lo, s20
.LBB6_1093:                             ;   in Loop: Header=BB6_1009 Depth=2
	s_delay_alu instid0(SALU_CYCLE_1) | instskip(NEXT) | instid1(VALU_DEP_2)
	s_or_b32 exec_lo, exec_lo, s19
	v_cmp_lt_i32_e64 s13, 0, v117
	s_delay_alu instid0(VALU_DEP_1) | instskip(SKIP_1) | instid1(VALU_DEP_1)
	v_cndmask_b32_e64 v16, 0, v48, s13
	v_and_b32_e32 v4, 12, v116
	v_dual_cndmask_b32 v116, v115, v4 :: v_dual_sub_nc_u32 v5, v115, v4
	s_delay_alu instid0(VALU_DEP_1) | instskip(NEXT) | instid1(VALU_DEP_4)
	v_cndmask_b32_e32 v4, 0, v5, vcc_lo
	v_sub_nc_u32_e32 v5, v16, v117
	s_delay_alu instid0(VALU_DEP_3) | instskip(NEXT) | instid1(VALU_DEP_3)
	v_cmp_ne_u32_e32 vcc_lo, 0, v116
	v_add3_u32 v117, v114, v18, v4
	s_delay_alu instid0(VALU_DEP_3)
	v_lshl_add_u32 v119, v5, 5, v19
	s_and_b32 s19, vcc_lo, exec_lo
.LBB6_1094:                             ;   in Loop: Header=BB6_1009 Depth=2
	s_or_b32 exec_lo, exec_lo, s18
	s_and_saveexec_b32 s13, s19
	s_cbranch_execz .LBB6_1103
.LBB6_1095:                             ;   in Loop: Header=BB6_1009 Depth=2
	s_delay_alu instid0(VALU_DEP_1) | instskip(SKIP_1) | instid1(VALU_DEP_1)
	v_dual_ashrrev_i32 v4, 31, v119 :: v_dual_ashrrev_i32 v5, 31, v116
	s_mov_b32 s18, exec_lo
	v_dual_lshrrev_b32 v4, 27, v4 :: v_dual_lshrrev_b32 v5, 22, v5
	s_delay_alu instid0(VALU_DEP_1) | instskip(NEXT) | instid1(VALU_DEP_1)
	v_dual_add_nc_u32 v16, v119, v4 :: v_dual_add_nc_u32 v4, v116, v5
	v_ashrrev_i32_e32 v40, 5, v16
	s_delay_alu instid0(VALU_DEP_2) | instskip(NEXT) | instid1(VALU_DEP_1)
	v_ashrrev_i32_e32 v42, 10, v4
	v_sub_nc_u32_e32 v41, v42, v40
	s_delay_alu instid0(VALU_DEP_1)
	v_cmpx_lt_i32_e32 0, v41
	s_cbranch_execz .LBB6_1099
; %bb.1096:                             ;   in Loop: Header=BB6_1009 Depth=2
	v_and_b32_e32 v4, 0x3fffffe0, v16
	v_lshlrev_b32_e32 v5, 10, v40
	v_mov_b64_e32 v[18:19], v[14:15]
	v_mov_b64_e32 v[114:115], v[12:13]
	s_mov_b32 s19, 0
	v_sub_nc_u32_e32 v4, v119, v4
	s_delay_alu instid0(VALU_DEP_1) | instskip(NEXT) | instid1(VALU_DEP_1)
	v_lshlrev_b32_e32 v4, 2, v4
	v_add3_u32 v16, v4, v117, v5
	s_delay_alu instid0(VALU_DEP_1)
	v_ashrrev_i32_e32 v17, 31, v16
.LBB6_1097:                             ;   Parent Loop BB6_47 Depth=1
                                        ;     Parent Loop BB6_1009 Depth=2
                                        ; =>    This Inner Loop Header: Depth=3
	s_delay_alu instid0(VALU_DEP_1)
	v_add_nc_u64_e32 v[4:5], v[16:17], v[114:115]
	v_sub_nc_u32_e32 v41, v41, v48
	v_add_nc_u64_e32 v[114:115], v[114:115], v[66:67]
	s_clause 0x7
	flat_load_b32 v22, v[4:5] th:TH_LOAD_NT
	flat_load_b32 v23, v[4:5] offset:128 th:TH_LOAD_NT
	flat_load_b32 v24, v[4:5] offset:256 th:TH_LOAD_NT
	flat_load_b32 v25, v[4:5] offset:384 th:TH_LOAD_NT
	flat_load_b32 v50, v[4:5] offset:512 th:TH_LOAD_NT
	flat_load_b32 v51, v[4:5] offset:640 th:TH_LOAD_NT
	flat_load_b32 v52, v[4:5] offset:768 th:TH_LOAD_NT
	flat_load_b32 v53, v[4:5] offset:896 th:TH_LOAD_NT
	s_wait_xcnt 0x0
	v_add_nc_u64_e32 v[4:5], v[16:17], v[18:19]
	v_add_nc_u64_e32 v[18:19], v[18:19], v[66:67]
	v_cmp_gt_i32_e32 vcc_lo, 1, v41
	s_wait_loadcnt_dscnt 0x707
	flat_store_b32 v[4:5], v22 th:TH_STORE_NT
	s_wait_loadcnt_dscnt 0x607
	flat_store_b32 v[4:5], v23 offset:128 th:TH_STORE_NT
	s_wait_loadcnt_dscnt 0x507
	flat_store_b32 v[4:5], v24 offset:256 th:TH_STORE_NT
	;; [unrolled: 2-line block ×7, first 2 shown]
	s_or_b32 s19, vcc_lo, s19
	s_wait_xcnt 0x0
	s_and_not1_b32 exec_lo, exec_lo, s19
	s_cbranch_execnz .LBB6_1097
; %bb.1098:                             ;   in Loop: Header=BB6_1009 Depth=2
	s_or_b32 exec_lo, exec_lo, s19
.LBB6_1099:                             ;   in Loop: Header=BB6_1009 Depth=2
	s_delay_alu instid0(SALU_CYCLE_1) | instskip(SKIP_1) | instid1(VALU_DEP_1)
	s_or_b32 exec_lo, exec_lo, s18
	v_lshlrev_b32_e32 v16, 10, v42
	v_cmp_ne_u32_e32 vcc_lo, v116, v16
	s_and_b32 exec_lo, exec_lo, vcc_lo
	s_cbranch_execz .LBB6_1103
; %bb.1100:                             ;   in Loop: Header=BB6_1009 Depth=2
	v_dual_lshlrev_b32 v4, 5, v40 :: v_dual_lshlrev_b32 v5, 5, v41
	s_delay_alu instid0(VALU_DEP_1) | instskip(NEXT) | instid1(VALU_DEP_1)
	v_sub_nc_u32_e32 v4, v119, v4
	v_sub_nc_u32_e32 v4, v4, v5
	s_delay_alu instid0(VALU_DEP_1) | instskip(NEXT) | instid1(VALU_DEP_1)
	v_ashrrev_i32_e32 v5, 31, v4
	v_lshrrev_b32_e32 v5, 27, v5
	s_delay_alu instid0(VALU_DEP_1) | instskip(NEXT) | instid1(VALU_DEP_1)
	v_add_nc_u32_e32 v5, v4, v5
	v_and_b32_e32 v17, 0x3fffffe0, v5
	v_lshlrev_b32_e32 v5, 2, v5
	s_delay_alu instid0(VALU_DEP_2) | instskip(NEXT) | instid1(VALU_DEP_2)
	v_sub_nc_u32_e32 v4, v4, v17
	v_and_b32_e32 v5, 0xffffff80, v5
	s_delay_alu instid0(VALU_DEP_2) | instskip(NEXT) | instid1(VALU_DEP_1)
	v_lshlrev_b32_e32 v4, 2, v4
	v_add3_u32 v16, v5, v4, v16
	s_delay_alu instid0(VALU_DEP_1) | instskip(NEXT) | instid1(VALU_DEP_1)
	v_sub_nc_u32_e32 v18, v116, v16
	v_cmp_lt_i32_e32 vcc_lo, 3, v18
	s_and_b32 exec_lo, exec_lo, vcc_lo
	s_cbranch_execz .LBB6_1103
; %bb.1101:                             ;   in Loop: Header=BB6_1009 Depth=2
	v_add_nc_u32_e32 v16, v16, v117
	s_mov_b32 s18, 0
	s_delay_alu instid0(VALU_DEP_1)
	v_ashrrev_i32_e32 v17, 31, v16
.LBB6_1102:                             ;   Parent Loop BB6_47 Depth=1
                                        ;     Parent Loop BB6_1009 Depth=2
                                        ; =>    This Inner Loop Header: Depth=3
	s_delay_alu instid0(VALU_DEP_1) | instskip(SKIP_1) | instid1(VALU_DEP_1)
	v_add_nc_u64_e32 v[4:5], v[12:13], v[16:17]
	v_sub_nc_u32_e32 v18, v18, v68
	v_cmp_gt_i32_e32 vcc_lo, 4, v18
	flat_load_b32 v19, v[4:5] th:TH_LOAD_NT
	s_wait_xcnt 0x0
	v_add_nc_u64_e32 v[4:5], v[14:15], v[16:17]
	v_add_nc_u64_e32 v[16:17], v[16:17], v[68:69]
	s_or_b32 s18, vcc_lo, s18
	s_wait_loadcnt_dscnt 0x0
	flat_store_b32 v[4:5], v19 th:TH_STORE_NT
	s_wait_xcnt 0x0
	s_and_not1_b32 exec_lo, exec_lo, s18
	s_cbranch_execnz .LBB6_1102
.LBB6_1103:                             ;   in Loop: Header=BB6_1009 Depth=2
	s_or_b32 exec_lo, exec_lo, s13
	v_cmp_lt_i32_e64 s13, 0, v9
	s_and_saveexec_b32 s18, s2
	s_cbranch_execz .LBB6_1080
.LBB6_1104:                             ;   in Loop: Header=BB6_1009 Depth=2
	s_and_saveexec_b32 s19, s3
	s_delay_alu instid0(SALU_CYCLE_1)
	s_xor_b32 s19, exec_lo, s19
	s_cbranch_execz .LBB6_1119
; %bb.1105:                             ;   in Loop: Header=BB6_1009 Depth=2
	s_and_saveexec_b32 s20, s6
	s_cbranch_execz .LBB6_1118
; %bb.1106:                             ;   in Loop: Header=BB6_1009 Depth=2
	s_mov_b32 s24, exec_lo
	s_mov_b32 s21, exec_lo
	v_mbcnt_lo_u32_b32 v4, s24, 0
	global_wb scope:SCOPE_DEV
	s_wait_storecnt 0x0
	s_wait_loadcnt_dscnt 0x0
	global_inv scope:SCOPE_DEV
	v_cmpx_eq_u32_e32 0, v4
	s_cbranch_execz .LBB6_1108
; %bb.1107:                             ;   in Loop: Header=BB6_1009 Depth=2
	s_bcnt1_i32_b32 s24, s24
	s_delay_alu instid0(SALU_CYCLE_1)
	v_dual_mov_b32 v5, v2 :: v_dual_mov_b32 v4, s24
	s_wait_loadcnt 0x0
	ds_add_u64 v0, v[4:5]
	s_trap 2
.LBB6_1108:                             ;   in Loop: Header=BB6_1009 Depth=2
	s_or_b32 exec_lo, exec_lo, s21
	s_trap 2
	ds_load_b64 v[4:5], v0
	s_wait_dscnt 0x0
	v_add_nc_u64_e32 v[36:37], v[36:37], v[48:49]
	s_mov_b32 s21, exec_lo
	s_delay_alu instid0(VALU_DEP_1)
	v_cmpx_lt_u64_e64 v[4:5], v[36:37]
	s_cbranch_execz .LBB6_1117
; %bb.1109:                             ;   in Loop: Header=BB6_1009 Depth=2
	s_mov_b32 s24, 0
	s_mov_b32 s73, 0
                                        ; implicit-def: $sgpr43
                                        ; implicit-def: $sgpr72
	s_branch .LBB6_1111
.LBB6_1110:                             ;   in Loop: Header=BB6_1111 Depth=3
	s_or_b32 exec_lo, exec_lo, s75
	s_delay_alu instid0(SALU_CYCLE_1) | instskip(NEXT) | instid1(SALU_CYCLE_1)
	s_and_b32 s74, exec_lo, s76
	s_or_b32 s24, s74, s24
	s_and_not1_b32 s43, s43, exec_lo
	s_and_b32 s74, s72, exec_lo
	s_delay_alu instid0(SALU_CYCLE_1)
	s_or_b32 s43, s43, s74
	s_and_not1_b32 exec_lo, exec_lo, s24
	s_cbranch_execz .LBB6_1115
.LBB6_1111:                             ;   Parent Loop BB6_47 Depth=1
                                        ;     Parent Loop BB6_1009 Depth=2
                                        ; =>    This Inner Loop Header: Depth=3
	s_add_co_i32 s73, s73, 1
	s_delay_alu instid0(SALU_CYCLE_1) | instskip(SKIP_1) | instid1(SALU_CYCLE_1)
	s_cmp_lg_u32 s73, 0x2710
	s_cselect_b32 s74, -1, 0
	s_and_b32 vcc_lo, exec_lo, s74
	s_cbranch_vccz .LBB6_1113
; %bb.1112:                             ;   in Loop: Header=BB6_1111 Depth=3
	s_mov_b32 s76, -1
	s_or_b32 s72, s72, exec_lo
	s_and_saveexec_b32 s75, s74
	s_cbranch_execz .LBB6_1110
	s_branch .LBB6_1114
.LBB6_1113:                             ;   in Loop: Header=BB6_1111 Depth=3
	s_trap 2
	ds_load_b64 v[4:5], v0
	s_and_not1_b32 s74, s74, exec_lo
	s_mov_b32 s73, 0
	s_wait_loadcnt_dscnt 0x0
	flat_load_b32 v4, v[4:5] scope:SCOPE_SYS
	s_wait_loadcnt_dscnt 0x0
	global_inv scope:SCOPE_SYS
	v_cmp_eq_u32_e32 vcc_lo, 0, v4
	s_and_b32 s75, vcc_lo, exec_lo
	s_delay_alu instid0(SALU_CYCLE_1)
	s_or_b32 s74, s74, s75
	s_mov_b32 s76, -1
	s_or_b32 s72, s72, exec_lo
	s_and_saveexec_b32 s75, s74
	s_cbranch_execz .LBB6_1110
.LBB6_1114:                             ;   in Loop: Header=BB6_1111 Depth=3
	s_sleep 1
	s_trap 2
	ds_load_b64 v[4:5], v0
	s_wait_dscnt 0x0
	s_and_not1_b32 s72, s72, exec_lo
	v_cmp_ge_u64_e32 vcc_lo, v[4:5], v[36:37]
	s_or_not1_b32 s76, vcc_lo, exec_lo
	s_branch .LBB6_1110
.LBB6_1115:                             ;   in Loop: Header=BB6_1009 Depth=2
	s_or_b32 exec_lo, exec_lo, s24
	s_and_saveexec_b32 s24, s43
	s_delay_alu instid0(SALU_CYCLE_1)
	s_xor_b32 s24, exec_lo, s24
	s_cbranch_execz .LBB6_1117
; %bb.1116:                             ;   in Loop: Header=BB6_1009 Depth=2
	ds_store_b32 v0, v89
	s_trap 2
.LBB6_1117:                             ;   in Loop: Header=BB6_1009 Depth=2
	s_or_b32 exec_lo, exec_lo, s21
	;;#ASMSTART
	s_wakeup
	;;#ASMEND
.LBB6_1118:                             ;   in Loop: Header=BB6_1009 Depth=2
	s_or_b32 exec_lo, exec_lo, s20
.LBB6_1119:                             ;   in Loop: Header=BB6_1009 Depth=2
	s_and_not1_saveexec_b32 s19, s19
	s_cbranch_execz .LBB6_1121
; %bb.1120:                             ;   in Loop: Header=BB6_1009 Depth=2
	global_wb scope:SCOPE_DEV
	s_wait_storecnt 0x0
	s_wait_loadcnt_dscnt 0x0
	global_inv scope:SCOPE_DEV
	s_barrier_signal -1
	s_barrier_wait -1
.LBB6_1121:                             ;   in Loop: Header=BB6_1009 Depth=2
	s_or_b32 exec_lo, exec_lo, s19
	s_delay_alu instid0(SALU_CYCLE_1) | instskip(SKIP_1) | instid1(SALU_CYCLE_1)
	s_or_b32 exec_lo, exec_lo, s18
	s_and_saveexec_b32 s18, s12
	s_xor_b32 s18, exec_lo, s18
	s_cbranch_execnz .LBB6_1081
.LBB6_1122:                             ;   in Loop: Header=BB6_1009 Depth=2
	s_and_not1_saveexec_b32 s13, s18
	s_cbranch_execz .LBB6_1141
.LBB6_1123:                             ;   in Loop: Header=BB6_1009 Depth=2
	s_and_saveexec_b32 s18, s3
	s_delay_alu instid0(SALU_CYCLE_1)
	s_xor_b32 s18, exec_lo, s18
	s_cbranch_execz .LBB6_1138
; %bb.1124:                             ;   in Loop: Header=BB6_1009 Depth=2
	s_and_saveexec_b32 s19, s6
	s_cbranch_execz .LBB6_1137
; %bb.1125:                             ;   in Loop: Header=BB6_1009 Depth=2
	s_mov_b32 s21, exec_lo
	s_mov_b32 s20, exec_lo
	v_mbcnt_lo_u32_b32 v4, s21, 0
	;;#ASMSTART
	s_waitcnt lgkmcnt(0) vmcnt(0)
	;;#ASMEND
	s_delay_alu instid0(VALU_DEP_1)
	v_cmpx_eq_u32_e32 0, v4
	s_cbranch_execz .LBB6_1127
; %bb.1126:                             ;   in Loop: Header=BB6_1009 Depth=2
	s_bcnt1_i32_b32 s21, s21
	s_delay_alu instid0(SALU_CYCLE_1)
	v_dual_mov_b32 v5, v2 :: v_dual_mov_b32 v4, s21
	s_wait_storecnt 0x0
	s_wait_loadcnt_dscnt 0x0
	ds_add_u64 v0, v[4:5]
	s_trap 2
.LBB6_1127:                             ;   in Loop: Header=BB6_1009 Depth=2
	s_or_b32 exec_lo, exec_lo, s20
	s_trap 2
	ds_load_b64 v[4:5], v0
	s_wait_dscnt 0x0
	v_add_nc_u64_e32 v[36:37], v[36:37], v[48:49]
	s_mov_b32 s20, exec_lo
	s_delay_alu instid0(VALU_DEP_1)
	v_cmpx_lt_u64_e64 v[4:5], v[36:37]
	s_cbranch_execz .LBB6_1136
; %bb.1128:                             ;   in Loop: Header=BB6_1009 Depth=2
	s_mov_b32 s21, 0
	s_mov_b32 s72, 0
                                        ; implicit-def: $sgpr24
                                        ; implicit-def: $sgpr43
	s_branch .LBB6_1130
.LBB6_1129:                             ;   in Loop: Header=BB6_1130 Depth=3
	s_or_b32 exec_lo, exec_lo, s74
	s_delay_alu instid0(SALU_CYCLE_1) | instskip(NEXT) | instid1(SALU_CYCLE_1)
	s_and_b32 s73, exec_lo, s75
	s_or_b32 s21, s73, s21
	s_and_not1_b32 s24, s24, exec_lo
	s_and_b32 s73, s43, exec_lo
	s_delay_alu instid0(SALU_CYCLE_1)
	s_or_b32 s24, s24, s73
	s_and_not1_b32 exec_lo, exec_lo, s21
	s_cbranch_execz .LBB6_1134
.LBB6_1130:                             ;   Parent Loop BB6_47 Depth=1
                                        ;     Parent Loop BB6_1009 Depth=2
                                        ; =>    This Inner Loop Header: Depth=3
	s_add_co_i32 s72, s72, 1
	s_delay_alu instid0(SALU_CYCLE_1) | instskip(SKIP_1) | instid1(SALU_CYCLE_1)
	s_cmp_lg_u32 s72, 0x2710
	s_cselect_b32 s73, -1, 0
	s_and_b32 vcc_lo, exec_lo, s73
	s_cbranch_vccz .LBB6_1132
; %bb.1131:                             ;   in Loop: Header=BB6_1130 Depth=3
	s_mov_b32 s75, -1
	s_or_b32 s43, s43, exec_lo
	s_and_saveexec_b32 s74, s73
	s_cbranch_execz .LBB6_1129
	s_branch .LBB6_1133
.LBB6_1132:                             ;   in Loop: Header=BB6_1130 Depth=3
	s_trap 2
	ds_load_b64 v[4:5], v0
	s_and_not1_b32 s73, s73, exec_lo
	s_mov_b32 s72, 0
	s_wait_storecnt 0x0
	s_wait_loadcnt_dscnt 0x0
	flat_load_b32 v4, v[4:5] scope:SCOPE_SYS
	s_wait_loadcnt_dscnt 0x0
	global_inv scope:SCOPE_SYS
	v_cmp_eq_u32_e32 vcc_lo, 0, v4
	s_and_b32 s74, vcc_lo, exec_lo
	s_delay_alu instid0(SALU_CYCLE_1)
	s_or_b32 s73, s73, s74
	s_mov_b32 s75, -1
	s_or_b32 s43, s43, exec_lo
	s_and_saveexec_b32 s74, s73
	s_cbranch_execz .LBB6_1129
.LBB6_1133:                             ;   in Loop: Header=BB6_1130 Depth=3
	s_sleep 1
	s_trap 2
	ds_load_b64 v[4:5], v0
	s_wait_dscnt 0x0
	s_and_not1_b32 s43, s43, exec_lo
	v_cmp_ge_u64_e32 vcc_lo, v[4:5], v[36:37]
	s_or_not1_b32 s75, vcc_lo, exec_lo
	s_branch .LBB6_1129
.LBB6_1134:                             ;   in Loop: Header=BB6_1009 Depth=2
	s_or_b32 exec_lo, exec_lo, s21
	s_and_saveexec_b32 s21, s24
	s_delay_alu instid0(SALU_CYCLE_1)
	s_xor_b32 s21, exec_lo, s21
	s_cbranch_execz .LBB6_1136
; %bb.1135:                             ;   in Loop: Header=BB6_1009 Depth=2
	ds_store_b32 v0, v89
	s_trap 2
.LBB6_1136:                             ;   in Loop: Header=BB6_1009 Depth=2
	s_or_b32 exec_lo, exec_lo, s20
	;;#ASMSTART
	s_wakeup
	;;#ASMEND
.LBB6_1137:                             ;   in Loop: Header=BB6_1009 Depth=2
	s_or_b32 exec_lo, exec_lo, s19
.LBB6_1138:                             ;   in Loop: Header=BB6_1009 Depth=2
	s_and_not1_saveexec_b32 s18, s18
	s_cbranch_execz .LBB6_1140
; %bb.1139:                             ;   in Loop: Header=BB6_1009 Depth=2
	;;#ASMSTART
	s_waitcnt lgkmcnt(0) vmcnt(0)
	;;#ASMEND
	s_barrier_signal -1
	s_barrier_wait -1
.LBB6_1140:                             ;   in Loop: Header=BB6_1009 Depth=2
	s_or_b32 exec_lo, exec_lo, s18
.LBB6_1141:                             ;   in Loop: Header=BB6_1009 Depth=2
	s_delay_alu instid0(SALU_CYCLE_1) | instskip(SKIP_2) | instid1(VALU_DEP_1)
	s_or_b32 exec_lo, exec_lo, s13
	v_and_b32_e32 v4, 32, v30
	s_mov_b32 s13, exec_lo
	v_cmpx_ne_u32_e32 0, v4
	s_cbranch_execz .LBB6_1008
; %bb.1142:                             ;   in Loop: Header=BB6_1009 Depth=2
	v_add_nc_u64_e32 v[112:113], 2, v[112:113]
	global_wb scope:SCOPE_SYS
	s_wait_storecnt 0x0
	s_wait_loadcnt_dscnt 0x0
	flat_store_b64 v[26:27], v[112:113] scope:SCOPE_SYS
	s_branch .LBB6_1008
.LBB6_1143:                             ;   in Loop: Header=BB6_47 Depth=1
	s_or_b32 exec_lo, exec_lo, s15
.LBB6_1144:                             ;   in Loop: Header=BB6_47 Depth=1
	s_delay_alu instid0(SALU_CYCLE_1)
	s_or_b32 exec_lo, exec_lo, s14
	v_cmp_gt_i32_e32 vcc_lo, 2, v9
	s_mov_b32 s14, exec_lo
	scratch_load_b128 v[22:25], off, s33 offset:192 ; 16-byte Folded Reload
	s_wait_loadcnt 0x0
	scratch_load_b64 v[24:25], off, s33 offset:208 ; 8-byte Folded Reload
	s_and_b32 s13, s14, vcc_lo
	s_wait_xcnt 0x0
	s_mov_b32 exec_lo, s13
	s_cbranch_execz .LBB6_46
; %bb.1145:                             ;   in Loop: Header=BB6_47 Depth=1
	v_cmp_eq_u32_e64 s16, 0, v9
	s_mov_b32 s15, 0
	s_branch .LBB6_1147
.LBB6_1146:                             ;   in Loop: Header=BB6_1147 Depth=2
	s_wait_xcnt 0x0
	s_or_b32 exec_lo, exec_lo, s13
	v_add_nc_u32_e32 v8, v118, v8
	s_mov_b32 s16, 0
	s_and_not1_b32 exec_lo, exec_lo, s15
	s_cbranch_execz .LBB6_45
.LBB6_1147:                             ;   Parent Loop BB6_47 Depth=1
                                        ; =>  This Loop Header: Depth=2
                                        ;       Child Loop BB6_1153 Depth 3
                                        ;       Child Loop BB6_1177 Depth 3
	;; [unrolled: 1-line block ×3, first 2 shown]
	v_and_b32_e32 v4, 4, v30
	s_mov_b32 s17, exec_lo
	s_delay_alu instid0(VALU_DEP_1)
	v_cmpx_ne_u32_e32 0, v4
	s_cbranch_execz .LBB6_1169
; %bb.1148:                             ;   in Loop: Header=BB6_1147 Depth=2
	v_add_nc_u64_e32 v[10:11], 2, v[112:113]
	s_mov_b32 s18, exec_lo
	s_wait_loadcnt_dscnt 0x1
	s_delay_alu instid0(VALU_DEP_1)
	v_cmpx_lt_u64_e64 v[38:39], v[10:11]
	s_cbranch_execz .LBB6_1160
; %bb.1149:                             ;   in Loop: Header=BB6_1147 Depth=2
	v_and_b32_e32 v4, 64, v30
	s_mov_b32 s19, 0
	s_mov_b32 s43, 0
                                        ; implicit-def: $sgpr20
                                        ; implicit-def: $sgpr21
                                        ; implicit-def: $sgpr24
	s_delay_alu instid0(VALU_DEP_1)
	v_cmp_eq_u32_e32 vcc_lo, 0, v4
	s_branch .LBB6_1153
.LBB6_1150:                             ;   in Loop: Header=BB6_1153 Depth=3
	s_wait_loadcnt_dscnt 0x0
	v_cmp_ge_u64_e64 s13, v[38:39], v[10:11]
	s_or_b32 s74, s74, exec_lo
	s_or_not1_b32 s73, s13, exec_lo
.LBB6_1151:                             ;   in Loop: Header=BB6_1153 Depth=3
	s_or_b32 exec_lo, exec_lo, s76
	s_delay_alu instid0(SALU_CYCLE_1)
	s_and_not1_b32 s13, s24, exec_lo
	s_and_b32 s24, s74, exec_lo
	s_and_not1_b32 s21, s21, exec_lo
	s_and_b32 s73, s73, exec_lo
	s_or_b32 s24, s13, s24
	s_or_b32 s21, s21, s73
.LBB6_1152:                             ;   in Loop: Header=BB6_1153 Depth=3
	s_or_b32 exec_lo, exec_lo, s72
	s_delay_alu instid0(SALU_CYCLE_1) | instskip(NEXT) | instid1(SALU_CYCLE_1)
	s_and_b32 s13, exec_lo, s21
	s_or_b32 s19, s13, s19
	s_and_not1_b32 s13, s20, exec_lo
	s_and_b32 s20, s24, exec_lo
	s_delay_alu instid0(SALU_CYCLE_1)
	s_or_b32 s20, s13, s20
	s_and_not1_b32 exec_lo, exec_lo, s19
	s_cbranch_execz .LBB6_1157
.LBB6_1153:                             ;   Parent Loop BB6_47 Depth=1
                                        ;     Parent Loop BB6_1147 Depth=2
                                        ; =>    This Inner Loop Header: Depth=3
	s_sleep 1
	s_wait_loadcnt_dscnt 0x0
	flat_load_b64 v[38:39], v[26:27] scope:SCOPE_SYS
	s_or_b32 s24, s24, exec_lo
	s_or_b32 s21, s21, exec_lo
                                        ; implicit-def: $vgpr9
	s_wait_xcnt 0x0
	s_and_saveexec_b32 s72, vcc_lo
	s_cbranch_execz .LBB6_1152
; %bb.1154:                             ;   in Loop: Header=BB6_1153 Depth=3
	s_cmp_lt_i32 s43, 0x270f
	s_mov_b32 s73, -1
	s_cselect_b32 s75, -1, 0
	s_cmp_gt_i32 s43, 0x270e
	s_cbranch_scc0 .LBB6_1156
; %bb.1155:                             ;   in Loop: Header=BB6_1153 Depth=3
	s_trap 2
	ds_load_b64 v[4:5], v0
	s_and_not1_b32 s43, s75, exec_lo
	s_mov_b32 s74, 0
	s_wait_storecnt 0x0
	s_wait_loadcnt_dscnt 0x0
	flat_load_b32 v9, v[4:5] scope:SCOPE_SYS
	s_wait_loadcnt_dscnt 0x0
	global_inv scope:SCOPE_SYS
	v_cmp_eq_u32_e64 s13, 0, v9
	s_and_b32 s13, s13, exec_lo
	s_delay_alu instid0(SALU_CYCLE_1)
	s_or_b32 s75, s43, s13
	s_mov_b32 s43, 0
	s_and_saveexec_b32 s76, s75
	s_cbranch_execz .LBB6_1151
	s_branch .LBB6_1150
.LBB6_1156:                             ;   in Loop: Header=BB6_1153 Depth=3
	s_add_co_i32 s43, s43, 1
	s_mov_b32 s74, -1
                                        ; implicit-def: $vgpr9
	s_and_saveexec_b32 s76, s75
	s_cbranch_execz .LBB6_1151
	s_branch .LBB6_1150
.LBB6_1157:                             ;   in Loop: Header=BB6_1147 Depth=2
	s_or_b32 exec_lo, exec_lo, s19
	s_xor_b32 s13, s20, -1
	s_delay_alu instid0(SALU_CYCLE_1) | instskip(NEXT) | instid1(SALU_CYCLE_1)
	s_and_saveexec_b32 s19, s13
	s_xor_b32 s13, exec_lo, s19
	s_cbranch_execz .LBB6_1159
; %bb.1158:                             ;   in Loop: Header=BB6_1147 Depth=2
	v_or_b32_e32 v30, 64, v30
	s_wait_storecnt 0x0
	s_wait_loadcnt_dscnt 0x0
	ds_store_b32 v0, v9
	s_trap 2
.LBB6_1159:                             ;   in Loop: Header=BB6_1147 Depth=2
	s_or_b32 exec_lo, exec_lo, s13
.LBB6_1160:                             ;   in Loop: Header=BB6_1147 Depth=2
	s_delay_alu instid0(SALU_CYCLE_1)
	s_or_b32 exec_lo, exec_lo, s18
	v_and_b32_e32 v4, 0x100, v30
	v_dual_mov_b32 v13, v2 :: v_dual_bitop2_b32 v12, 7, v112 bitop3:0x40
	s_mov_b32 s13, -1
	s_mov_b32 s18, exec_lo
	;;#ASMSTART
	s_wakeup
	;;#ASMEND
                                        ; implicit-def: $vgpr14_vgpr15
	v_cmpx_ne_u32_e32 0, v4
	s_cbranch_execz .LBB6_1164
; %bb.1161:                             ;   in Loop: Header=BB6_1147 Depth=2
	v_mad_nc_u64_u32 v[16:17], v12, 24, v[6:7]
	s_mov_b32 s19, exec_lo
                                        ; implicit-def: $vgpr14_vgpr15
	flat_load_b32 v4, v[16:17]
	s_wait_loadcnt_dscnt 0x0
	v_cmp_ne_u32_e32 vcc_lo, 1, v4
	s_wait_xcnt 0x0
	v_cmpx_eq_u32_e32 1, v4
	s_cbranch_execz .LBB6_1163
; %bb.1162:                             ;   in Loop: Header=BB6_1147 Depth=2
	flat_load_b32 v4, v[16:17] offset:4 scope:SCOPE_SYS
	s_wait_loadcnt_dscnt 0x0
	v_ashrrev_i32_e32 v5, 31, v4
	s_delay_alu instid0(VALU_DEP_1)
	v_lshrrev_b64 v[14:15], 2, v[4:5]
.LBB6_1163:                             ;   in Loop: Header=BB6_1147 Depth=2
	s_wait_xcnt 0x0
	s_or_b32 exec_lo, exec_lo, s19
	s_delay_alu instid0(SALU_CYCLE_1)
	s_or_not1_b32 s13, vcc_lo, exec_lo
.LBB6_1164:                             ;   in Loop: Header=BB6_1147 Depth=2
	s_or_b32 exec_lo, exec_lo, s18
	s_and_saveexec_b32 s18, s13
; %bb.1165:                             ;   in Loop: Header=BB6_1147 Depth=2
	v_mul_u64_e32 v[14:15], v[12:13], v[28:29]
; %bb.1166:                             ;   in Loop: Header=BB6_1147 Depth=2
	s_or_b32 exec_lo, exec_lo, s18
	v_and_b32_e32 v9, 0x2000, v30
	s_delay_alu instid0(VALU_DEP_2)
	v_lshl_add_u64 v[4:5], v[14:15], 2, v[32:33]
	s_mov_b32 s13, exec_lo
	ds_store_b64 v0, v[4:5] offset:720
	v_cmpx_ne_u32_e32 0, v9
	s_cbranch_execz .LBB6_1168
; %bb.1167:                             ;   in Loop: Header=BB6_1147 Depth=2
	ds_load_b64 v[4:5], v0 offset:872
	s_wait_dscnt 0x0
	v_add_nc_u64_e32 v[4:5], 1, v[4:5]
	ds_store_b64 v0, v[4:5] offset:872
.LBB6_1168:                             ;   in Loop: Header=BB6_1147 Depth=2
	s_or_b32 exec_lo, exec_lo, s13
	v_mov_b64_e32 v[112:113], v[10:11]
.LBB6_1169:                             ;   in Loop: Header=BB6_1147 Depth=2
	s_or_b32 exec_lo, exec_lo, s17
	s_xor_b32 s13, s16, -1
	s_delay_alu instid0(SALU_CYCLE_1) | instskip(NEXT) | instid1(SALU_CYCLE_1)
	s_and_b32 s13, exec_lo, s13
	s_or_b32 s15, s13, s15
	s_and_saveexec_b32 s13, s2
	s_cbranch_execz .LBB6_1188
; %bb.1170:                             ;   in Loop: Header=BB6_1147 Depth=2
	s_and_saveexec_b32 s16, s3
	s_delay_alu instid0(SALU_CYCLE_1)
	s_xor_b32 s16, exec_lo, s16
	s_cbranch_execz .LBB6_1185
; %bb.1171:                             ;   in Loop: Header=BB6_1147 Depth=2
	s_and_saveexec_b32 s17, s6
	s_cbranch_execz .LBB6_1184
; %bb.1172:                             ;   in Loop: Header=BB6_1147 Depth=2
	s_mov_b32 s19, exec_lo
	s_mov_b32 s18, exec_lo
	v_mbcnt_lo_u32_b32 v4, s19, 0
	global_wb scope:SCOPE_DEV
	s_wait_storecnt 0x0
	s_wait_loadcnt_dscnt 0x0
	global_inv scope:SCOPE_DEV
	v_cmpx_eq_u32_e32 0, v4
	s_cbranch_execz .LBB6_1174
; %bb.1173:                             ;   in Loop: Header=BB6_1147 Depth=2
	s_bcnt1_i32_b32 s19, s19
	s_delay_alu instid0(SALU_CYCLE_1)
	v_dual_mov_b32 v5, v2 :: v_dual_mov_b32 v4, s19
	s_wait_loadcnt 0x0
	ds_add_u64 v0, v[4:5]
	s_trap 2
.LBB6_1174:                             ;   in Loop: Header=BB6_1147 Depth=2
	s_or_b32 exec_lo, exec_lo, s18
	s_trap 2
	ds_load_b64 v[4:5], v0
	s_wait_dscnt 0x0
	v_add_nc_u64_e32 v[36:37], v[36:37], v[48:49]
	s_mov_b32 s18, exec_lo
	s_delay_alu instid0(VALU_DEP_1)
	v_cmpx_lt_u64_e64 v[4:5], v[36:37]
	s_cbranch_execz .LBB6_1183
; %bb.1175:                             ;   in Loop: Header=BB6_1147 Depth=2
	s_mov_b32 s19, 0
	s_mov_b32 s24, 0
                                        ; implicit-def: $sgpr20
                                        ; implicit-def: $sgpr21
	s_branch .LBB6_1177
.LBB6_1176:                             ;   in Loop: Header=BB6_1177 Depth=3
	s_or_b32 exec_lo, exec_lo, s72
	s_delay_alu instid0(SALU_CYCLE_1) | instskip(NEXT) | instid1(SALU_CYCLE_1)
	s_and_b32 s43, exec_lo, s73
	s_or_b32 s19, s43, s19
	s_and_not1_b32 s20, s20, exec_lo
	s_and_b32 s43, s21, exec_lo
	s_delay_alu instid0(SALU_CYCLE_1)
	s_or_b32 s20, s20, s43
	s_and_not1_b32 exec_lo, exec_lo, s19
	s_cbranch_execz .LBB6_1181
.LBB6_1177:                             ;   Parent Loop BB6_47 Depth=1
                                        ;     Parent Loop BB6_1147 Depth=2
                                        ; =>    This Inner Loop Header: Depth=3
	s_add_co_i32 s24, s24, 1
	s_delay_alu instid0(SALU_CYCLE_1) | instskip(SKIP_1) | instid1(SALU_CYCLE_1)
	s_cmp_lg_u32 s24, 0x2710
	s_cselect_b32 s43, -1, 0
	s_and_b32 vcc_lo, exec_lo, s43
	s_cbranch_vccz .LBB6_1179
; %bb.1178:                             ;   in Loop: Header=BB6_1177 Depth=3
	s_mov_b32 s73, -1
	s_or_b32 s21, s21, exec_lo
	s_and_saveexec_b32 s72, s43
	s_cbranch_execz .LBB6_1176
	s_branch .LBB6_1180
.LBB6_1179:                             ;   in Loop: Header=BB6_1177 Depth=3
	s_trap 2
	ds_load_b64 v[4:5], v0
	s_and_not1_b32 s43, s43, exec_lo
	s_mov_b32 s24, 0
	s_wait_loadcnt_dscnt 0x0
	flat_load_b32 v4, v[4:5] scope:SCOPE_SYS
	s_wait_loadcnt_dscnt 0x0
	global_inv scope:SCOPE_SYS
	v_cmp_eq_u32_e32 vcc_lo, 0, v4
	s_and_b32 s72, vcc_lo, exec_lo
	s_delay_alu instid0(SALU_CYCLE_1)
	s_or_b32 s43, s43, s72
	s_mov_b32 s73, -1
	s_or_b32 s21, s21, exec_lo
	s_and_saveexec_b32 s72, s43
	s_cbranch_execz .LBB6_1176
.LBB6_1180:                             ;   in Loop: Header=BB6_1177 Depth=3
	s_sleep 1
	s_trap 2
	ds_load_b64 v[4:5], v0
	s_wait_dscnt 0x0
	s_and_not1_b32 s21, s21, exec_lo
	v_cmp_ge_u64_e32 vcc_lo, v[4:5], v[36:37]
	s_or_not1_b32 s73, vcc_lo, exec_lo
	s_branch .LBB6_1176
.LBB6_1181:                             ;   in Loop: Header=BB6_1147 Depth=2
	s_or_b32 exec_lo, exec_lo, s19
	s_and_saveexec_b32 s19, s20
	s_delay_alu instid0(SALU_CYCLE_1)
	s_xor_b32 s19, exec_lo, s19
	s_cbranch_execz .LBB6_1183
; %bb.1182:                             ;   in Loop: Header=BB6_1147 Depth=2
	ds_store_b32 v0, v89
	s_trap 2
.LBB6_1183:                             ;   in Loop: Header=BB6_1147 Depth=2
	s_or_b32 exec_lo, exec_lo, s18
	;;#ASMSTART
	s_wakeup
	;;#ASMEND
.LBB6_1184:                             ;   in Loop: Header=BB6_1147 Depth=2
	s_or_b32 exec_lo, exec_lo, s17
.LBB6_1185:                             ;   in Loop: Header=BB6_1147 Depth=2
	s_and_not1_saveexec_b32 s16, s16
	s_cbranch_execz .LBB6_1187
; %bb.1186:                             ;   in Loop: Header=BB6_1147 Depth=2
	global_wb scope:SCOPE_DEV
	s_wait_storecnt 0x0
	s_wait_loadcnt_dscnt 0x0
	global_inv scope:SCOPE_DEV
	s_barrier_signal -1
	s_barrier_wait -1
.LBB6_1187:                             ;   in Loop: Header=BB6_1147 Depth=2
	s_or_b32 exec_lo, exec_lo, s16
.LBB6_1188:                             ;   in Loop: Header=BB6_1147 Depth=2
	s_delay_alu instid0(SALU_CYCLE_1) | instskip(SKIP_1) | instid1(VALU_DEP_1)
	s_or_b32 exec_lo, exec_lo, s13
	v_sub_nc_u32_e32 v4, v3, v8
	v_min_i32_e32 v118, v118, v4
	s_and_saveexec_b32 s13, s12
	s_delay_alu instid0(SALU_CYCLE_1)
	s_xor_b32 s16, exec_lo, s13
	s_cbranch_execz .LBB6_1192
; %bb.1189:                             ;   in Loop: Header=BB6_1147 Depth=2
	s_trap 2
	ds_load_b32 v4, v0
	v_cmp_lt_i32_e32 vcc_lo, 0, v118
	s_wait_dscnt 0x0
	v_readfirstlane_b32 s13, v4
	v_and_b32_e32 v4, 16, v30
	s_cmp_eq_u32 s13, 0
	s_delay_alu instid0(VALU_DEP_1) | instskip(SKIP_1) | instid1(SALU_CYCLE_1)
	v_cmp_ne_u32_e64 s13, 0, v4
	s_cselect_b32 s17, -1, 0
	s_and_b32 s17, vcc_lo, s17
	s_delay_alu instid0(SALU_CYCLE_1) | instskip(NEXT) | instid1(SALU_CYCLE_1)
	s_and_b32 s17, s13, s17
	s_and_saveexec_b32 s13, s17
	s_cbranch_execz .LBB6_1191
; %bb.1190:                             ;   in Loop: Header=BB6_1147 Depth=2
	global_wb scope:SCOPE_SYS
	s_wait_loadcnt 0x0
	s_wait_storecnt 0x0
	global_inv scope:SCOPE_SYS
.LBB6_1191:                             ;   in Loop: Header=BB6_1147 Depth=2
	s_or_b32 exec_lo, exec_lo, s13
.LBB6_1192:                             ;   in Loop: Header=BB6_1147 Depth=2
	s_and_not1_saveexec_b32 s13, s16
	s_cbranch_execz .LBB6_1211
; %bb.1193:                             ;   in Loop: Header=BB6_1147 Depth=2
	s_and_saveexec_b32 s16, s3
	s_delay_alu instid0(SALU_CYCLE_1)
	s_xor_b32 s16, exec_lo, s16
	s_cbranch_execz .LBB6_1208
; %bb.1194:                             ;   in Loop: Header=BB6_1147 Depth=2
	s_and_saveexec_b32 s17, s6
	s_cbranch_execz .LBB6_1207
; %bb.1195:                             ;   in Loop: Header=BB6_1147 Depth=2
	s_mov_b32 s19, exec_lo
	s_mov_b32 s18, exec_lo
	v_mbcnt_lo_u32_b32 v4, s19, 0
	;;#ASMSTART
	s_waitcnt lgkmcnt(0) vmcnt(0)
	;;#ASMEND
	s_delay_alu instid0(VALU_DEP_1)
	v_cmpx_eq_u32_e32 0, v4
	s_cbranch_execz .LBB6_1197
; %bb.1196:                             ;   in Loop: Header=BB6_1147 Depth=2
	s_bcnt1_i32_b32 s19, s19
	s_delay_alu instid0(SALU_CYCLE_1)
	v_dual_mov_b32 v5, v2 :: v_dual_mov_b32 v4, s19
	s_wait_storecnt 0x0
	s_wait_loadcnt_dscnt 0x0
	ds_add_u64 v0, v[4:5]
	s_trap 2
.LBB6_1197:                             ;   in Loop: Header=BB6_1147 Depth=2
	s_or_b32 exec_lo, exec_lo, s18
	s_trap 2
	ds_load_b64 v[4:5], v0
	s_wait_dscnt 0x0
	v_add_nc_u64_e32 v[36:37], v[36:37], v[48:49]
	s_mov_b32 s18, exec_lo
	s_delay_alu instid0(VALU_DEP_1)
	v_cmpx_lt_u64_e64 v[4:5], v[36:37]
	s_cbranch_execz .LBB6_1206
; %bb.1198:                             ;   in Loop: Header=BB6_1147 Depth=2
	s_mov_b32 s19, 0
	s_mov_b32 s24, 0
                                        ; implicit-def: $sgpr20
                                        ; implicit-def: $sgpr21
	s_branch .LBB6_1200
.LBB6_1199:                             ;   in Loop: Header=BB6_1200 Depth=3
	s_or_b32 exec_lo, exec_lo, s72
	s_delay_alu instid0(SALU_CYCLE_1) | instskip(NEXT) | instid1(SALU_CYCLE_1)
	s_and_b32 s43, exec_lo, s73
	s_or_b32 s19, s43, s19
	s_and_not1_b32 s20, s20, exec_lo
	s_and_b32 s43, s21, exec_lo
	s_delay_alu instid0(SALU_CYCLE_1)
	s_or_b32 s20, s20, s43
	s_and_not1_b32 exec_lo, exec_lo, s19
	s_cbranch_execz .LBB6_1204
.LBB6_1200:                             ;   Parent Loop BB6_47 Depth=1
                                        ;     Parent Loop BB6_1147 Depth=2
                                        ; =>    This Inner Loop Header: Depth=3
	s_add_co_i32 s24, s24, 1
	s_delay_alu instid0(SALU_CYCLE_1) | instskip(SKIP_1) | instid1(SALU_CYCLE_1)
	s_cmp_lg_u32 s24, 0x2710
	s_cselect_b32 s43, -1, 0
	s_and_b32 vcc_lo, exec_lo, s43
	s_cbranch_vccz .LBB6_1202
; %bb.1201:                             ;   in Loop: Header=BB6_1200 Depth=3
	s_mov_b32 s73, -1
	s_or_b32 s21, s21, exec_lo
	s_and_saveexec_b32 s72, s43
	s_cbranch_execz .LBB6_1199
	s_branch .LBB6_1203
.LBB6_1202:                             ;   in Loop: Header=BB6_1200 Depth=3
	s_trap 2
	ds_load_b64 v[4:5], v0
	s_and_not1_b32 s43, s43, exec_lo
	s_mov_b32 s24, 0
	s_wait_storecnt 0x0
	s_wait_loadcnt_dscnt 0x0
	flat_load_b32 v4, v[4:5] scope:SCOPE_SYS
	s_wait_loadcnt_dscnt 0x0
	global_inv scope:SCOPE_SYS
	v_cmp_eq_u32_e32 vcc_lo, 0, v4
	s_and_b32 s72, vcc_lo, exec_lo
	s_delay_alu instid0(SALU_CYCLE_1)
	s_or_b32 s43, s43, s72
	s_mov_b32 s73, -1
	s_or_b32 s21, s21, exec_lo
	s_and_saveexec_b32 s72, s43
	s_cbranch_execz .LBB6_1199
.LBB6_1203:                             ;   in Loop: Header=BB6_1200 Depth=3
	s_sleep 1
	s_trap 2
	ds_load_b64 v[4:5], v0
	s_wait_dscnt 0x0
	s_and_not1_b32 s21, s21, exec_lo
	v_cmp_ge_u64_e32 vcc_lo, v[4:5], v[36:37]
	s_or_not1_b32 s73, vcc_lo, exec_lo
	s_branch .LBB6_1199
.LBB6_1204:                             ;   in Loop: Header=BB6_1147 Depth=2
	s_or_b32 exec_lo, exec_lo, s19
	s_and_saveexec_b32 s19, s20
	s_delay_alu instid0(SALU_CYCLE_1)
	s_xor_b32 s19, exec_lo, s19
	s_cbranch_execz .LBB6_1206
; %bb.1205:                             ;   in Loop: Header=BB6_1147 Depth=2
	ds_store_b32 v0, v89
	s_trap 2
.LBB6_1206:                             ;   in Loop: Header=BB6_1147 Depth=2
	s_or_b32 exec_lo, exec_lo, s18
	;;#ASMSTART
	s_wakeup
	;;#ASMEND
.LBB6_1207:                             ;   in Loop: Header=BB6_1147 Depth=2
	s_or_b32 exec_lo, exec_lo, s17
.LBB6_1208:                             ;   in Loop: Header=BB6_1147 Depth=2
	s_and_not1_saveexec_b32 s16, s16
	s_cbranch_execz .LBB6_1210
; %bb.1209:                             ;   in Loop: Header=BB6_1147 Depth=2
	;;#ASMSTART
	s_waitcnt lgkmcnt(0) vmcnt(0)
	;;#ASMEND
	s_barrier_signal -1
	s_barrier_wait -1
.LBB6_1210:                             ;   in Loop: Header=BB6_1147 Depth=2
	s_or_b32 exec_lo, exec_lo, s16
.LBB6_1211:                             ;   in Loop: Header=BB6_1147 Depth=2
	s_delay_alu instid0(SALU_CYCLE_1) | instskip(SKIP_2) | instid1(VALU_DEP_1)
	s_or_b32 exec_lo, exec_lo, s13
	v_and_b32_e32 v4, 32, v30
	s_mov_b32 s13, exec_lo
	v_cmpx_ne_u32_e32 0, v4
	s_cbranch_execz .LBB6_1146
; %bb.1212:                             ;   in Loop: Header=BB6_1147 Depth=2
	v_add_nc_u64_e32 v[112:113], 2, v[112:113]
	global_wb scope:SCOPE_SYS
	s_wait_storecnt 0x0
	s_wait_loadcnt_dscnt 0x0
	flat_store_b64 v[26:27], v[112:113] scope:SCOPE_SYS
	s_branch .LBB6_1146
.LBB6_1213:
	s_or_b32 exec_lo, exec_lo, s63
	scratch_load_b64 v[20:21], off, s33 offset:216 ; 8-byte Folded Reload
.LBB6_1214:
	s_wait_xcnt 0x0
	s_or_b32 exec_lo, exec_lo, s47
	v_and_b32_e32 v0, 0x800, v30
	s_mov_b32 s1, exec_lo
	s_delay_alu instid0(VALU_DEP_1)
	v_cmpx_eq_u32_e32 0, v0
	s_cbranch_execz .LBB6_1247
; %bb.1215:
	v_and_b32_e32 v0, 48, v30
	s_mov_b32 s0, exec_lo
	s_delay_alu instid0(VALU_DEP_1)
	v_cmpx_ne_u32_e32 0, v0
	s_cbranch_execz .LBB6_1217
; %bb.1216:
	s_wait_loadcnt 0x0
	flat_store_b64 v[20:21], v[112:113] offset:104
.LBB6_1217:
	s_wait_xcnt 0x0
	s_or_b32 exec_lo, exec_lo, s0
	v_and_b32_e32 v0, 0x88, v30
	s_mov_b32 s2, exec_lo
	s_delay_alu instid0(VALU_DEP_1)
	v_cmpx_eq_u32_e32 0x88, v0
	s_cbranch_execz .LBB6_1227
; %bb.1218:
	v_add_nc_u32_e32 v0, 6, v112
	s_mov_b32 s3, 0
	s_delay_alu instid0(VALU_DEP_1) | instskip(NEXT) | instid1(VALU_DEP_1)
	v_and_b32_e32 v0, 7, v0
	v_mad_nc_u64_u32 v[2:3], v0, 24, v[6:7]
	v_and_b32_e32 v0, 64, v30
	s_delay_alu instid0(VALU_DEP_1)
	v_cmp_eq_u32_e64 s0, 0, v0
	flat_load_b64 v[4:5], v[2:3] offset:8 scope:SCOPE_SYS
	s_wait_loadcnt_dscnt 0x0
	v_cmp_ne_u64_e32 vcc_lo, -1, v[4:5]
	s_and_b32 s0, vcc_lo, s0
	s_wait_xcnt 0x0
	s_and_b32 exec_lo, exec_lo, s0
	s_cbranch_execz .LBB6_1227
; %bb.1219:
	s_mov_b32 s5, 0
                                        ; implicit-def: $sgpr0
                                        ; implicit-def: $sgpr4
	s_branch .LBB6_1222
.LBB6_1220:                             ;   in Loop: Header=BB6_1222 Depth=1
	flat_load_b64 v[4:5], v[2:3] offset:8 scope:SCOPE_SYS
	s_wait_loadcnt 0x0
	s_and_not1_b32 s4, s4, exec_lo
	s_wait_dscnt 0x0
	v_cmp_eq_u64_e32 vcc_lo, -1, v[4:5]
	s_or_not1_b32 s7, vcc_lo, exec_lo
.LBB6_1221:                             ;   in Loop: Header=BB6_1222 Depth=1
	s_wait_xcnt 0x0
	s_or_b32 exec_lo, exec_lo, s10
	s_delay_alu instid0(SALU_CYCLE_1) | instskip(NEXT) | instid1(SALU_CYCLE_1)
	s_and_b32 s6, exec_lo, s7
	s_or_b32 s3, s6, s3
	s_and_not1_b32 s0, s0, exec_lo
	s_and_b32 s6, s4, exec_lo
	s_delay_alu instid0(SALU_CYCLE_1)
	s_or_b32 s0, s0, s6
	s_and_not1_b32 exec_lo, exec_lo, s3
	s_cbranch_execz .LBB6_1225
.LBB6_1222:                             ; =>This Inner Loop Header: Depth=1
	s_cmp_lt_i32 s5, 0x270f
	s_cselect_b32 s6, -1, 0
	s_delay_alu instid0(SALU_CYCLE_1)
	s_and_b32 vcc_lo, exec_lo, s6
	s_cbranch_vccnz .LBB6_1224
; %bb.1223:                             ;   in Loop: Header=BB6_1222 Depth=1
	s_trap 2
	ds_load_b64 v[4:5], v0
	s_and_not1_b32 s6, s6, exec_lo
	s_mov_b32 s5, 0
	s_wait_storecnt_dscnt 0x0
	flat_load_b32 v0, v[4:5] scope:SCOPE_SYS
	s_wait_loadcnt_dscnt 0x0
	global_inv scope:SCOPE_SYS
	v_cmp_eq_u32_e32 vcc_lo, 0, v0
	s_and_b32 s7, vcc_lo, exec_lo
	s_delay_alu instid0(SALU_CYCLE_1)
	s_or_b32 s6, s6, s7
	s_mov_b32 s7, -1
	s_or_b32 s4, s4, exec_lo
	s_wait_xcnt 0x0
	s_and_saveexec_b32 s10, s6
	s_cbranch_execz .LBB6_1221
	s_branch .LBB6_1220
.LBB6_1224:                             ;   in Loop: Header=BB6_1222 Depth=1
	s_add_co_i32 s5, s5, 1
                                        ; implicit-def: $vgpr0
	s_mov_b32 s7, -1
	s_or_b32 s4, s4, exec_lo
	s_and_saveexec_b32 s10, s6
	s_cbranch_execz .LBB6_1221
	s_branch .LBB6_1220
.LBB6_1225:
	s_or_b32 exec_lo, exec_lo, s3
	s_and_saveexec_b32 s3, s0
	s_delay_alu instid0(SALU_CYCLE_1)
	s_xor_b32 s3, exec_lo, s3
	s_cbranch_execz .LBB6_1227
; %bb.1226:
	s_wait_loadcnt 0x0
	s_wait_storecnt 0x0
	ds_store_b32 v0, v0
	s_trap 2
.LBB6_1227:
	s_or_b32 exec_lo, exec_lo, s2
	v_and_b32_e32 v0, 0x2000, v30
	s_mov_b32 s0, exec_lo
	s_delay_alu instid0(VALU_DEP_1)
	v_cmpx_ne_u32_e32 0, v0
	s_cbranch_execz .LBB6_1229
; %bb.1228:
	s_trap 2
	scratch_load_b64 v[4:5], off, s33 offset:224 th:TH_LOAD_LU ; 8-byte Folded Reload
	ds_load_b64 v[2:3], v0
	s_wait_loadcnt_dscnt 0x0
	flat_store_b64 v[4:5], v[2:3] offset:16
.LBB6_1229:
	s_wait_xcnt 0x0
	s_or_b32 exec_lo, exec_lo, s0
	v_cmp_ne_u32_e32 vcc_lo, 32, v1
	s_and_b32 exec_lo, exec_lo, vcc_lo
	s_cbranch_execz .LBB6_1247
; %bb.1230:
	s_mov_b32 s0, exec_lo
	v_cmpx_ne_u32_e64 v1, v126
	s_xor_b32 s0, exec_lo, s0
	s_cbranch_execz .LBB6_1245
; %bb.1231:
	v_and_b32_e32 v0, 31, v31
	s_mov_b32 s2, exec_lo
	s_delay_alu instid0(VALU_DEP_1)
	v_cmpx_eq_u32_e32 0, v0
	s_cbranch_execz .LBB6_1244
; %bb.1232:
	s_mov_b32 s4, exec_lo
	s_mov_b32 s3, exec_lo
	v_mbcnt_lo_u32_b32 v0, s4, 0
	global_wb scope:SCOPE_DEV
	s_wait_storecnt 0x0
	s_wait_loadcnt_dscnt 0x0
	global_inv scope:SCOPE_DEV
	v_cmpx_eq_u32_e32 0, v0
	s_cbranch_execz .LBB6_1234
; %bb.1233:
	s_bcnt1_i32_b32 s4, s4
	s_delay_alu instid0(SALU_CYCLE_1)
	v_dual_mov_b32 v3, 0 :: v_dual_mov_b32 v2, s4
	s_wait_loadcnt 0x0
	ds_add_u64 v0, v[2:3]
	s_trap 2
.LBB6_1234:
	s_or_b32 exec_lo, exec_lo, s3
	s_trap 2
	ds_load_b64 v[2:3], v0
	s_wait_dscnt 0x0
	v_dual_mov_b32 v1, 0 :: v_dual_lshrrev_b32 v0, 5, v1
	s_mov_b32 s3, exec_lo
	s_delay_alu instid0(VALU_DEP_1) | instskip(NEXT) | instid1(VALU_DEP_1)
	v_add_nc_u64_e32 v[0:1], v[36:37], v[0:1]
	v_cmpx_lt_u64_e64 v[2:3], v[0:1]
	s_cbranch_execz .LBB6_1243
; %bb.1235:
	s_mov_b32 s4, 0
	s_mov_b32 s7, 0
                                        ; implicit-def: $sgpr5
                                        ; implicit-def: $sgpr6
	s_branch .LBB6_1237
.LBB6_1236:                             ;   in Loop: Header=BB6_1237 Depth=1
	s_or_b32 exec_lo, exec_lo, s11
	s_delay_alu instid0(SALU_CYCLE_1) | instskip(NEXT) | instid1(SALU_CYCLE_1)
	s_and_b32 s10, exec_lo, s12
	s_or_b32 s4, s10, s4
	s_and_not1_b32 s5, s5, exec_lo
	s_and_b32 s10, s6, exec_lo
	s_delay_alu instid0(SALU_CYCLE_1)
	s_or_b32 s5, s5, s10
	s_and_not1_b32 exec_lo, exec_lo, s4
	s_cbranch_execz .LBB6_1241
.LBB6_1237:                             ; =>This Inner Loop Header: Depth=1
	s_add_co_i32 s7, s7, 1
	s_delay_alu instid0(SALU_CYCLE_1) | instskip(SKIP_1) | instid1(SALU_CYCLE_1)
	s_cmp_lg_u32 s7, 0x2710
	s_cselect_b32 s10, -1, 0
	s_and_b32 vcc_lo, exec_lo, s10
	s_cbranch_vccz .LBB6_1239
; %bb.1238:                             ;   in Loop: Header=BB6_1237 Depth=1
	s_mov_b32 s12, -1
	s_or_b32 s6, s6, exec_lo
	s_and_saveexec_b32 s11, s10
	s_cbranch_execz .LBB6_1236
	s_branch .LBB6_1240
.LBB6_1239:                             ;   in Loop: Header=BB6_1237 Depth=1
	s_trap 2
	ds_load_b64 v[2:3], v0
	s_and_not1_b32 s10, s10, exec_lo
	s_mov_b32 s7, 0
	s_wait_loadcnt_dscnt 0x0
	flat_load_b32 v2, v[2:3] scope:SCOPE_SYS
	s_wait_loadcnt_dscnt 0x0
	global_inv scope:SCOPE_SYS
	v_cmp_eq_u32_e32 vcc_lo, 0, v2
	s_and_b32 s11, vcc_lo, exec_lo
	s_delay_alu instid0(SALU_CYCLE_1)
	s_or_b32 s10, s10, s11
	s_mov_b32 s12, -1
	s_or_b32 s6, s6, exec_lo
	s_and_saveexec_b32 s11, s10
	s_cbranch_execz .LBB6_1236
.LBB6_1240:                             ;   in Loop: Header=BB6_1237 Depth=1
	s_sleep 1
	s_trap 2
	ds_load_b64 v[2:3], v0
	s_wait_dscnt 0x0
	s_and_not1_b32 s6, s6, exec_lo
	v_cmp_ge_u64_e32 vcc_lo, v[2:3], v[0:1]
	s_or_not1_b32 s12, vcc_lo, exec_lo
	s_branch .LBB6_1236
.LBB6_1241:
	s_or_b32 exec_lo, exec_lo, s4
	s_and_saveexec_b32 s4, s5
	s_delay_alu instid0(SALU_CYCLE_1)
	s_xor_b32 s4, exec_lo, s4
	s_cbranch_execz .LBB6_1243
; %bb.1242:
	v_mov_b32_e32 v0, 1
	ds_store_b32 v0, v0
	s_trap 2
.LBB6_1243:
	s_or_b32 exec_lo, exec_lo, s3
	;;#ASMSTART
	s_wakeup
	;;#ASMEND
.LBB6_1244:
	s_or_b32 exec_lo, exec_lo, s2
.LBB6_1245:
	s_and_not1_saveexec_b32 s0, s0
	s_cbranch_execz .LBB6_1247
; %bb.1246:
	global_wb scope:SCOPE_DEV
	s_wait_storecnt 0x0
	s_wait_loadcnt_dscnt 0x0
	global_inv scope:SCOPE_DEV
	s_barrier_signal -1
	s_barrier_wait -1
.LBB6_1247:
	s_or_b32 exec_lo, exec_lo, s1
.LBB6_1248:
	s_and_not1_saveexec_b32 s21, s46
	s_cbranch_execz .LBB6_1250
; %bb.1249:
	s_get_pc_i64 s[0:1]
	s_add_nc_u64 s[0:1], s[0:1], __PRETTY_FUNCTION__._ZN10PrimitivesIj14FuncSumPostDivIjE12FanSymmetricILi1EELi0E11ProtoSimpleILi2ELi2ELi0ELi4ELi0ELi0EELi0ELb0ELi0ELi0ELi0EEC2EiiPKiS8_PKvPvmhhhP15ncclDevWorkCollP14ncclDevWorkP2pii@rel64+4
	s_get_pc_i64 s[2:3]
	s_add_nc_u64 s[2:3], s[2:3], __assert_fail@rel64+4
	v_dual_mov_b32 v0, s0 :: v_dual_mov_b32 v1, s1
	s_swap_pc_i64 s[30:31], s[2:3]
	; divergent unreachable
.LBB6_1250:
	s_or_b32 exec_lo, exec_lo, s21
	s_clause 0x2d
	scratch_load_b32 v126, off, s33
	scratch_load_b32 v124, off, s33 offset:4
	scratch_load_b32 v123, off, s33 offset:8
	scratch_load_b32 v122, off, s33 offset:12
	scratch_load_b32 v121, off, s33 offset:16
	scratch_load_b32 v120, off, s33 offset:20
	scratch_load_b32 v111, off, s33 offset:24
	scratch_load_b32 v110, off, s33 offset:28
	scratch_load_b32 v109, off, s33 offset:32
	scratch_load_b32 v108, off, s33 offset:36
	scratch_load_b32 v107, off, s33 offset:40
	scratch_load_b32 v106, off, s33 offset:44
	scratch_load_b32 v105, off, s33 offset:48
	scratch_load_b32 v104, off, s33 offset:52
	scratch_load_b32 v95, off, s33 offset:56
	scratch_load_b32 v94, off, s33 offset:60
	scratch_load_b32 v93, off, s33 offset:64
	scratch_load_b32 v92, off, s33 offset:68
	scratch_load_b32 v91, off, s33 offset:72
	scratch_load_b32 v90, off, s33 offset:76
	scratch_load_b32 v89, off, s33 offset:80
	scratch_load_b32 v88, off, s33 offset:84
	scratch_load_b32 v79, off, s33 offset:88
	scratch_load_b32 v78, off, s33 offset:92
	scratch_load_b32 v77, off, s33 offset:96
	scratch_load_b32 v76, off, s33 offset:100
	scratch_load_b32 v75, off, s33 offset:104
	scratch_load_b32 v74, off, s33 offset:108
	scratch_load_b32 v73, off, s33 offset:112
	scratch_load_b32 v72, off, s33 offset:116
	scratch_load_b32 v63, off, s33 offset:120
	scratch_load_b32 v62, off, s33 offset:124
	scratch_load_b32 v61, off, s33 offset:128
	scratch_load_b32 v60, off, s33 offset:132
	scratch_load_b32 v59, off, s33 offset:136
	scratch_load_b32 v58, off, s33 offset:140
	scratch_load_b32 v57, off, s33 offset:144
	scratch_load_b32 v56, off, s33 offset:148
	scratch_load_b32 v47, off, s33 offset:152
	scratch_load_b32 v46, off, s33 offset:156
	scratch_load_b32 v45, off, s33 offset:160
	scratch_load_b32 v44, off, s33 offset:164
	scratch_load_b32 v43, off, s33 offset:168
	scratch_load_b32 v42, off, s33 offset:172
	scratch_load_b32 v41, off, s33 offset:176
	scratch_load_b32 v40, off, s33 offset:180
	v_readlane_b32 s30, v125, 0
	v_readlane_b32 s31, v125, 1
	s_mov_b32 s32, s33
	s_wait_xcnt 0x0
	s_or_saveexec_b32 s0, -1
	scratch_load_b32 v125, off, s33 offset:232 ; 4-byte Folded Reload
	s_wait_xcnt 0x0
	s_mov_b32 exec_lo, s0
	s_mov_b32 s33, s79
	s_wait_loadcnt_dscnt 0x0
	s_set_pc_i64 s[30:31]
.Lfunc_end6:
	.size	_ZN12_GLOBAL__N_17runRingIj14FuncSumPostDivIjE11ProtoSimpleILi2ELi2ELi0ELi4ELi0ELi0EELi0ELi0ELi4ELi0EEEviiP15ncclDevWorkColl, .Lfunc_end6-_ZN12_GLOBAL__N_17runRingIj14FuncSumPostDivIjE11ProtoSimpleILi2ELi2ELi0ELi4ELi0ELi0EELi0ELi0ELi4ELi0EEEviiP15ncclDevWorkColl
                                        ; -- End function
	.set .L_ZN12_GLOBAL__N_17runRingIj14FuncSumPostDivIjE11ProtoSimpleILi2ELi2ELi0ELi4ELi0ELi0EELi0ELi0ELi4ELi0EEEviiP15ncclDevWorkColl.num_vgpr, max(127, .L__assert_fail.num_vgpr)
	.set .L_ZN12_GLOBAL__N_17runRingIj14FuncSumPostDivIjE11ProtoSimpleILi2ELi2ELi0ELi4ELi0ELi0EELi0ELi0ELi4ELi0EEEviiP15ncclDevWorkColl.num_agpr, max(0, .L__assert_fail.num_agpr)
	.set .L_ZN12_GLOBAL__N_17runRingIj14FuncSumPostDivIjE11ProtoSimpleILi2ELi2ELi0ELi4ELi0ELi0EELi0ELi0ELi4ELi0EEEviiP15ncclDevWorkColl.numbered_sgpr, max(80, .L__assert_fail.numbered_sgpr)
	.set .L_ZN12_GLOBAL__N_17runRingIj14FuncSumPostDivIjE11ProtoSimpleILi2ELi2ELi0ELi4ELi0ELi0EELi0ELi0ELi4ELi0EEEviiP15ncclDevWorkColl.num_named_barrier, max(0, .L__assert_fail.num_named_barrier)
	.set .L_ZN12_GLOBAL__N_17runRingIj14FuncSumPostDivIjE11ProtoSimpleILi2ELi2ELi0ELi4ELi0ELi0EELi0ELi0ELi4ELi0EEEviiP15ncclDevWorkColl.private_seg_size, 240+max(.L__assert_fail.private_seg_size)
	.set .L_ZN12_GLOBAL__N_17runRingIj14FuncSumPostDivIjE11ProtoSimpleILi2ELi2ELi0ELi4ELi0ELi0EELi0ELi0ELi4ELi0EEEviiP15ncclDevWorkColl.uses_vcc, or(1, .L__assert_fail.uses_vcc)
	.set .L_ZN12_GLOBAL__N_17runRingIj14FuncSumPostDivIjE11ProtoSimpleILi2ELi2ELi0ELi4ELi0ELi0EELi0ELi0ELi4ELi0EEEviiP15ncclDevWorkColl.uses_flat_scratch, or(1, .L__assert_fail.uses_flat_scratch)
	.set .L_ZN12_GLOBAL__N_17runRingIj14FuncSumPostDivIjE11ProtoSimpleILi2ELi2ELi0ELi4ELi0ELi0EELi0ELi0ELi4ELi0EEEviiP15ncclDevWorkColl.has_dyn_sized_stack, or(0, .L__assert_fail.has_dyn_sized_stack)
	.set .L_ZN12_GLOBAL__N_17runRingIj14FuncSumPostDivIjE11ProtoSimpleILi2ELi2ELi0ELi4ELi0ELi0EELi0ELi0ELi4ELi0EEEviiP15ncclDevWorkColl.has_recursion, or(1, .L__assert_fail.has_recursion)
	.set .L_ZN12_GLOBAL__N_17runRingIj14FuncSumPostDivIjE11ProtoSimpleILi2ELi2ELi0ELi4ELi0ELi0EELi0ELi0ELi4ELi0EEEviiP15ncclDevWorkColl.has_indirect_call, or(0, .L__assert_fail.has_indirect_call)
	.section	.AMDGPU.csdata,"",@progbits
; Function info:
; codeLenInByte = 50720
; TotalNumSgprs: 82
; NumVgprs: 127
; ScratchSize: 304
; MemoryBound: 1
	.text
	.p2align	2                               ; -- Begin function _Z54ncclDevFunc_AllReduce_RING_SIMPLE_SumPostDiv_u32_0_0_4v
	.type	_Z54ncclDevFunc_AllReduce_RING_SIMPLE_SumPostDiv_u32_0_0_4v,@function
_Z54ncclDevFunc_AllReduce_RING_SIMPLE_SumPostDiv_u32_0_0_4v: ; @_Z54ncclDevFunc_AllReduce_RING_SIMPLE_SumPostDiv_u32_0_0_4v
; %bb.0:
	s_wait_loadcnt_dscnt 0x0
	s_wait_kmcnt 0x0
	s_mov_b32 s95, s33
	s_mov_b32 s33, s32
	s_or_saveexec_b32 s0, -1
	scratch_store_b32 off, v42, s33 offset:12 ; 4-byte Folded Spill
	s_wait_xcnt 0x0
	s_mov_b32 exec_lo, s0
	s_add_co_i32 s32, s32, 32
	s_clause 0x2
	scratch_store_b32 off, v40, s33 offset:8
	; meta instruction
	scratch_store_b32 off, v41, s33 offset:4
	; meta instruction
	scratch_store_b32 off, v125, s33
	v_writelane_b32 v42, s30, 0
	v_writelane_b32 v42, s31, 1
	s_trap 2
	ds_load_b32 v0, v0
	s_wait_xcnt 0x2
	v_mov_b32_e32 v40, v31
	s_mov_b32 s90, s12
	s_mov_b64 s[88:89], s[8:9]
	s_mov_b32 s2, exec_lo
	s_wait_xcnt 0x1
	v_and_b32_e32 v41, 0x3ff, v40
	s_wait_dscnt 0x0
	s_wait_xcnt 0x0
	s_delay_alu instid0(VALU_DEP_1)
	v_cmpx_lt_i32_e64 v41, v0
	s_cbranch_execz .LBB7_5
; %bb.1:
	s_load_b32 s0, s[88:89], 0x0
	s_bfe_u32 s1, ttmp6, 0x4000c
	s_and_b32 s3, ttmp6, 15
	s_add_co_i32 s1, s1, 1
	s_getreg_b32 s4, hwreg(HW_REG_IB_STS2, 6, 4)
	s_mul_i32 s1, ttmp9, s1
	v_mov_b32_e32 v2, v41
	s_add_co_i32 s3, s3, s1
	s_cmp_eq_u32 s4, 0
                                        ; implicit-def: $vgpr3
	s_cselect_b32 s1, ttmp9, s3
	s_wait_kmcnt 0x0
	s_cmp_lt_u32 s1, s0
	s_mov_b32 s1, 0
	s_cselect_b32 s0, 12, 18
	s_delay_alu instid0(SALU_CYCLE_1)
	s_add_nc_u64 s[4:5], s[88:89], s[0:1]
	s_load_u16 s0, s[4:5], 0x0
	s_trap 2
	ds_load_b32 v1, v0
	s_wait_dscnt 0x0
	s_wait_kmcnt 0x0
	v_mul_lo_u32 v1, v1, s0
	s_branch .LBB7_3
.LBB7_2:                                ;   in Loop: Header=BB7_3 Depth=1
	s_wait_xcnt 0x0
	s_or_b32 exec_lo, exec_lo, s3
	v_dual_add_nc_u32 v2, s0, v2 :: v_dual_add_nc_u32 v3, v3, v1
	s_delay_alu instid0(VALU_DEP_1) | instskip(SKIP_1) | instid1(SALU_CYCLE_1)
	v_cmp_ge_i32_e32 vcc_lo, v2, v0
	s_or_b32 s1, vcc_lo, s1
	s_and_not1_b32 exec_lo, exec_lo, s1
	s_cbranch_execz .LBB7_5
.LBB7_3:                                ; =>This Inner Loop Header: Depth=1
	ds_load_b32 v4, v3
	s_mov_b32 s3, exec_lo
	s_wait_dscnt 0x0
	v_and_b32_e32 v4, 0x1000000, v4
	s_delay_alu instid0(VALU_DEP_1)
	v_cmpx_ne_u32_e32 0, v4
	s_cbranch_execz .LBB7_2
; %bb.4:                                ;   in Loop: Header=BB7_3 Depth=1
	ds_load_b64 v[4:5], v3 offset:104
	s_wait_dscnt 0x0
	flat_load_b64 v[4:5], v[4:5]
	s_wait_loadcnt_dscnt 0x0
	ds_store_b64 v3, v[4:5] offset:104
	s_branch .LBB7_2
.LBB7_5:
	s_or_b32 exec_lo, exec_lo, s2
	s_wait_storecnt_dscnt 0x0
	s_barrier_signal -1
	s_barrier_wait -1
	s_trap 2
	ds_load_b32 v0, v0
	s_wait_dscnt 0x0
	v_cmp_gt_i32_e32 vcc_lo, 1, v0
	s_cbranch_vccnz .LBB7_13
; %bb.6:
	s_mov_b32 s91, 0
	s_get_pc_i64 s[92:93]
	s_add_nc_u64 s[92:93], s[92:93], _ZN12_GLOBAL__N_17runRingIj14FuncSumPostDivIjE11ProtoSimpleILi2ELi2ELi0ELi4ELi0ELi0EELi0ELi0ELi4ELi0EEEviiP15ncclDevWorkColl@rel64+4
	s_branch .LBB7_8
.LBB7_7:                                ;   in Loop: Header=BB7_8 Depth=1
	s_or_b32 exec_lo, exec_lo, s94
	s_trap 2
	ds_load_b32 v0, v0
	s_add_co_i32 s91, s91, 1
	s_wait_dscnt 0x0
	v_cmp_lt_i32_e32 vcc_lo, s91, v0
	s_cbranch_vccz .LBB7_13
.LBB7_8:                                ; =>This Inner Loop Header: Depth=1
	s_trap 2
	ds_load_b32 v0, v0
	s_cmp_eq_u32 s91, 0
	s_cbranch_scc1 .LBB7_11
; %bb.9:                                ;   in Loop: Header=BB7_8 Depth=1
	s_trap 2
	s_wait_dscnt 0x0
	ds_load_b32 v1, v0
	s_wait_dscnt 0x0
	v_xor_b32_e32 v1, v1, v0
	s_delay_alu instid0(VALU_DEP_1) | instskip(NEXT) | instid1(VALU_DEP_1)
	v_and_b32_e32 v1, 0xff0000, v1
	v_cmp_eq_u32_e32 vcc_lo, 0, v1
	s_cbranch_vccnz .LBB7_11
; %bb.10:                               ;   in Loop: Header=BB7_8 Depth=1
	s_barrier_signal -1
	s_barrier_wait -1
	ds_load_b32 v0, v0
.LBB7_11:                               ;   in Loop: Header=BB7_8 Depth=1
	s_wait_dscnt 0x0
	v_lshrrev_b32_e32 v0, 11, v0
	s_mov_b32 s94, exec_lo
	s_delay_alu instid0(VALU_DEP_1) | instskip(NEXT) | instid1(VALU_DEP_1)
	v_and_b32_e32 v1, 0x1fe0, v0
	v_cmpx_lt_u32_e64 v41, v1
	s_cbranch_execz .LBB7_7
; %bb.12:                               ;   in Loop: Header=BB7_8 Depth=1
	s_mov_b64 s[0:1], src_shared_base
	v_dual_mov_b32 v31, v40 :: v_dual_mov_b32 v0, v41
	v_mov_b32_e32 v3, s1
	s_mov_b64 s[8:9], s[88:89]
	s_mov_b32 s12, s90
	s_swap_pc_i64 s[30:31], s[92:93]
	s_branch .LBB7_7
.LBB7_13:
	s_clause 0x2
	scratch_load_b32 v125, off, s33
	scratch_load_b32 v41, off, s33 offset:4
	scratch_load_b32 v40, off, s33 offset:8
	v_readlane_b32 s30, v42, 0
	v_readlane_b32 s31, v42, 1
	s_mov_b32 s32, s33
	s_wait_xcnt 0x0
	s_or_saveexec_b32 s0, -1
	scratch_load_b32 v42, off, s33 offset:12 ; 4-byte Folded Reload
	s_wait_xcnt 0x0
	s_mov_b32 exec_lo, s0
	s_mov_b32 s33, s95
	s_wait_loadcnt 0x0
	s_set_pc_i64 s[30:31]
.Lfunc_end7:
	.size	_Z54ncclDevFunc_AllReduce_RING_SIMPLE_SumPostDiv_u32_0_0_4v, .Lfunc_end7-_Z54ncclDevFunc_AllReduce_RING_SIMPLE_SumPostDiv_u32_0_0_4v
                                        ; -- End function
	.set .L_Z54ncclDevFunc_AllReduce_RING_SIMPLE_SumPostDiv_u32_0_0_4v.num_vgpr, max(126, .L_ZN12_GLOBAL__N_17runRingIj14FuncSumPostDivIjE11ProtoSimpleILi2ELi2ELi0ELi4ELi0ELi0EELi0ELi0ELi4ELi0EEEviiP15ncclDevWorkColl.num_vgpr)
	.set .L_Z54ncclDevFunc_AllReduce_RING_SIMPLE_SumPostDiv_u32_0_0_4v.num_agpr, max(0, .L_ZN12_GLOBAL__N_17runRingIj14FuncSumPostDivIjE11ProtoSimpleILi2ELi2ELi0ELi4ELi0ELi0EELi0ELi0ELi4ELi0EEEviiP15ncclDevWorkColl.num_agpr)
	.set .L_Z54ncclDevFunc_AllReduce_RING_SIMPLE_SumPostDiv_u32_0_0_4v.numbered_sgpr, max(96, .L_ZN12_GLOBAL__N_17runRingIj14FuncSumPostDivIjE11ProtoSimpleILi2ELi2ELi0ELi4ELi0ELi0EELi0ELi0ELi4ELi0EEEviiP15ncclDevWorkColl.numbered_sgpr)
	.set .L_Z54ncclDevFunc_AllReduce_RING_SIMPLE_SumPostDiv_u32_0_0_4v.num_named_barrier, max(0, .L_ZN12_GLOBAL__N_17runRingIj14FuncSumPostDivIjE11ProtoSimpleILi2ELi2ELi0ELi4ELi0ELi0EELi0ELi0ELi4ELi0EEEviiP15ncclDevWorkColl.num_named_barrier)
	.set .L_Z54ncclDevFunc_AllReduce_RING_SIMPLE_SumPostDiv_u32_0_0_4v.private_seg_size, 32+max(.L_ZN12_GLOBAL__N_17runRingIj14FuncSumPostDivIjE11ProtoSimpleILi2ELi2ELi0ELi4ELi0ELi0EELi0ELi0ELi4ELi0EEEviiP15ncclDevWorkColl.private_seg_size)
	.set .L_Z54ncclDevFunc_AllReduce_RING_SIMPLE_SumPostDiv_u32_0_0_4v.uses_vcc, or(1, .L_ZN12_GLOBAL__N_17runRingIj14FuncSumPostDivIjE11ProtoSimpleILi2ELi2ELi0ELi4ELi0ELi0EELi0ELi0ELi4ELi0EEEviiP15ncclDevWorkColl.uses_vcc)
	.set .L_Z54ncclDevFunc_AllReduce_RING_SIMPLE_SumPostDiv_u32_0_0_4v.uses_flat_scratch, or(1, .L_ZN12_GLOBAL__N_17runRingIj14FuncSumPostDivIjE11ProtoSimpleILi2ELi2ELi0ELi4ELi0ELi0EELi0ELi0ELi4ELi0EEEviiP15ncclDevWorkColl.uses_flat_scratch)
	.set .L_Z54ncclDevFunc_AllReduce_RING_SIMPLE_SumPostDiv_u32_0_0_4v.has_dyn_sized_stack, or(0, .L_ZN12_GLOBAL__N_17runRingIj14FuncSumPostDivIjE11ProtoSimpleILi2ELi2ELi0ELi4ELi0ELi0EELi0ELi0ELi4ELi0EEEviiP15ncclDevWorkColl.has_dyn_sized_stack)
	.set .L_Z54ncclDevFunc_AllReduce_RING_SIMPLE_SumPostDiv_u32_0_0_4v.has_recursion, or(1, .L_ZN12_GLOBAL__N_17runRingIj14FuncSumPostDivIjE11ProtoSimpleILi2ELi2ELi0ELi4ELi0ELi0EELi0ELi0ELi4ELi0EEEviiP15ncclDevWorkColl.has_recursion)
	.set .L_Z54ncclDevFunc_AllReduce_RING_SIMPLE_SumPostDiv_u32_0_0_4v.has_indirect_call, or(0, .L_ZN12_GLOBAL__N_17runRingIj14FuncSumPostDivIjE11ProtoSimpleILi2ELi2ELi0ELi4ELi0ELi0EELi0ELi0ELi4ELi0EEEviiP15ncclDevWorkColl.has_indirect_call)
	.section	.AMDGPU.csdata,"",@progbits
; Function info:
; codeLenInByte = 740
; TotalNumSgprs: 98
; NumVgprs: 127
; ScratchSize: 336
; MemoryBound: 0
	.text
	.p2alignl 7, 3214868480
	.fill 96, 4, 3214868480
	.section	.AMDGPU.gpr_maximums,"",@progbits
	.set amdgpu.max_num_vgpr, 127
	.set amdgpu.max_num_agpr, 0
	.set amdgpu.max_num_sgpr, 96
	.text
	.type	__const.__assert_fail.fmt,@object ; @__const.__assert_fail.fmt
	.section	.rodata.str1.16,"aMS",@progbits,1
	.p2align	4, 0x0
__const.__assert_fail.fmt:
	.asciz	"%s:%u: %s: Device-side assertion `%s' failed.\n"
	.size	__const.__assert_fail.fmt, 47

	.type	.str.3,@object                  ; @.str.3
	.section	.rodata.str1.1,"aMS",@progbits,1
.str.3:
	.asciz	"2*(nrecv+nsend) <= nthreads"
	.size	.str.3, 28

	.type	.str.4,@object                  ; @.str.4
.str.4:
	.asciz	"/root/src/amdgpu-assembly/repos/ROCm__rccl/hipify/src/device/prims_simple.h"
	.size	.str.4, 76

	.type	__PRETTY_FUNCTION__._ZN10PrimitivesIj14FuncSumPostDivIjE12FanSymmetricILi1EELi0E11ProtoSimpleILi2ELi2ELi0ELi1ELi0ELi0EELi0ELb0ELi0ELi0ELi0EEC2EiiPKiS8_PKvPvmhhhP15ncclDevWorkCollP14ncclDevWorkP2pii,@object ; @__PRETTY_FUNCTION__._ZN10PrimitivesIj14FuncSumPostDivIjE12FanSymmetricILi1EELi0E11ProtoSimpleILi2ELi2ELi0ELi1ELi0ELi0EELi0ELb0ELi0ELi0ELi0EEC2EiiPKiS8_PKvPvmhhhP15ncclDevWorkCollP14ncclDevWorkP2pii
__PRETTY_FUNCTION__._ZN10PrimitivesIj14FuncSumPostDivIjE12FanSymmetricILi1EELi0E11ProtoSimpleILi2ELi2ELi0ELi1ELi0ELi0EELi0ELb0ELi0ELi0ELi0EEC2EiiPKiS8_PKvPvmhhhP15ncclDevWorkCollP14ncclDevWorkP2pii:
	.asciz	"Primitives<unsigned int, FuncSumPostDiv<unsigned int>, FanSymmetric<1>, 0, ProtoSimple<2, 2, 0, 1>, 0>::Primitives(int, int, const int *, const int *, const void *, void *, uint64_t, uint8_t, uint8_t, uint8_t, struct ncclDevWorkColl *, struct ncclDevWorkP2p *, int, int) [T = unsigned int, RedOp = FuncSumPostDiv<unsigned int>, Fan = FanSymmetric<1>, Direct = 0, Proto = ProtoSimple<2, 2, 0, 1>, P2p = 0, isNetOffload = false, Metadata = 0, Pipeline = 0, useAcc = 0]"
	.size	__PRETTY_FUNCTION__._ZN10PrimitivesIj14FuncSumPostDivIjE12FanSymmetricILi1EELi0E11ProtoSimpleILi2ELi2ELi0ELi1ELi0ELi0EELi0ELb0ELi0ELi0ELi0EEC2EiiPKiS8_PKvPvmhhhP15ncclDevWorkCollP14ncclDevWorkP2pii, 467

	.type	__PRETTY_FUNCTION__._ZN10PrimitivesIj14FuncSumPostDivIjE12FanSymmetricILi1EELi0E11ProtoSimpleILi2ELi2ELi0ELi2ELi0ELi0EELi0ELb0ELi0ELi0ELi0EEC2EiiPKiS8_PKvPvmhhhP15ncclDevWorkCollP14ncclDevWorkP2pii,@object ; @__PRETTY_FUNCTION__._ZN10PrimitivesIj14FuncSumPostDivIjE12FanSymmetricILi1EELi0E11ProtoSimpleILi2ELi2ELi0ELi2ELi0ELi0EELi0ELb0ELi0ELi0ELi0EEC2EiiPKiS8_PKvPvmhhhP15ncclDevWorkCollP14ncclDevWorkP2pii
__PRETTY_FUNCTION__._ZN10PrimitivesIj14FuncSumPostDivIjE12FanSymmetricILi1EELi0E11ProtoSimpleILi2ELi2ELi0ELi2ELi0ELi0EELi0ELb0ELi0ELi0ELi0EEC2EiiPKiS8_PKvPvmhhhP15ncclDevWorkCollP14ncclDevWorkP2pii:
	.asciz	"Primitives<unsigned int, FuncSumPostDiv<unsigned int>, FanSymmetric<1>, 0, ProtoSimple<2, 2, 0, 2>, 0>::Primitives(int, int, const int *, const int *, const void *, void *, uint64_t, uint8_t, uint8_t, uint8_t, struct ncclDevWorkColl *, struct ncclDevWorkP2p *, int, int) [T = unsigned int, RedOp = FuncSumPostDiv<unsigned int>, Fan = FanSymmetric<1>, Direct = 0, Proto = ProtoSimple<2, 2, 0, 2>, P2p = 0, isNetOffload = false, Metadata = 0, Pipeline = 0, useAcc = 0]"
	.size	__PRETTY_FUNCTION__._ZN10PrimitivesIj14FuncSumPostDivIjE12FanSymmetricILi1EELi0E11ProtoSimpleILi2ELi2ELi0ELi2ELi0ELi0EELi0ELb0ELi0ELi0ELi0EEC2EiiPKiS8_PKvPvmhhhP15ncclDevWorkCollP14ncclDevWorkP2pii, 467

	.type	__PRETTY_FUNCTION__._ZN10PrimitivesIj14FuncSumPostDivIjE12FanSymmetricILi1EELi0E11ProtoSimpleILi2ELi2ELi0ELi4ELi0ELi0EELi0ELb0ELi0ELi0ELi0EEC2EiiPKiS8_PKvPvmhhhP15ncclDevWorkCollP14ncclDevWorkP2pii,@object ; @__PRETTY_FUNCTION__._ZN10PrimitivesIj14FuncSumPostDivIjE12FanSymmetricILi1EELi0E11ProtoSimpleILi2ELi2ELi0ELi4ELi0ELi0EELi0ELb0ELi0ELi0ELi0EEC2EiiPKiS8_PKvPvmhhhP15ncclDevWorkCollP14ncclDevWorkP2pii
__PRETTY_FUNCTION__._ZN10PrimitivesIj14FuncSumPostDivIjE12FanSymmetricILi1EELi0E11ProtoSimpleILi2ELi2ELi0ELi4ELi0ELi0EELi0ELb0ELi0ELi0ELi0EEC2EiiPKiS8_PKvPvmhhhP15ncclDevWorkCollP14ncclDevWorkP2pii:
	.asciz	"Primitives<unsigned int, FuncSumPostDiv<unsigned int>, FanSymmetric<1>, 0, ProtoSimple<2, 2, 0, 4>, 0>::Primitives(int, int, const int *, const int *, const void *, void *, uint64_t, uint8_t, uint8_t, uint8_t, struct ncclDevWorkColl *, struct ncclDevWorkP2p *, int, int) [T = unsigned int, RedOp = FuncSumPostDiv<unsigned int>, Fan = FanSymmetric<1>, Direct = 0, Proto = ProtoSimple<2, 2, 0, 4>, P2p = 0, isNetOffload = false, Metadata = 0, Pipeline = 0, useAcc = 0]"
	.size	__PRETTY_FUNCTION__._ZN10PrimitivesIj14FuncSumPostDivIjE12FanSymmetricILi1EELi0E11ProtoSimpleILi2ELi2ELi0ELi4ELi0ELi0EELi0ELb0ELi0ELi0ELi0EEC2EiiPKiS8_PKvPvmhhhP15ncclDevWorkCollP14ncclDevWorkP2pii, 467

	.type	__hip_cuid_3051479565eb73a,@object ; @__hip_cuid_3051479565eb73a
	.section	.bss,"aw",@nobits
	.globl	__hip_cuid_3051479565eb73a
__hip_cuid_3051479565eb73a:
	.byte	0                               ; 0x0
	.size	__hip_cuid_3051479565eb73a, 1

	.ident	"AMD clang version 22.0.0git (https://github.com/RadeonOpenCompute/llvm-project roc-7.2.4 26084 f58b06dce1f9c15707c5f808fd002e18c2accf7e)"
	.section	".note.GNU-stack","",@progbits
	.addrsig
	.addrsig_sym _Z54ncclDevFunc_AllReduce_RING_SIMPLE_SumPostDiv_u32_0_0_1v
	.addrsig_sym _Z54ncclDevFunc_AllReduce_RING_SIMPLE_SumPostDiv_u32_0_0_2v
	.addrsig_sym _Z54ncclDevFunc_AllReduce_RING_SIMPLE_SumPostDiv_u32_0_0_4v
	.addrsig_sym ncclShmem
	.addrsig_sym __hip_cuid_3051479565eb73a
	.amdgpu_metadata
---
amdhsa.kernels:  []
amdhsa.target:   amdgcn-amd-amdhsa--gfx1250
amdhsa.version:
  - 1
  - 2
...

	.end_amdgpu_metadata
